;; amdgpu-corpus repo=ROCm/rocFFT kind=compiled arch=gfx1030 opt=O3
	.text
	.amdgcn_target "amdgcn-amd-amdhsa--gfx1030"
	.amdhsa_code_object_version 6
	.protected	fft_rtc_back_len4000_factors_10_10_10_4_wgs_200_tpt_200_halfLds_dp_ip_CI_unitstride_sbrr_C2R_dirReg ; -- Begin function fft_rtc_back_len4000_factors_10_10_10_4_wgs_200_tpt_200_halfLds_dp_ip_CI_unitstride_sbrr_C2R_dirReg
	.globl	fft_rtc_back_len4000_factors_10_10_10_4_wgs_200_tpt_200_halfLds_dp_ip_CI_unitstride_sbrr_C2R_dirReg
	.p2align	8
	.type	fft_rtc_back_len4000_factors_10_10_10_4_wgs_200_tpt_200_halfLds_dp_ip_CI_unitstride_sbrr_C2R_dirReg,@function
fft_rtc_back_len4000_factors_10_10_10_4_wgs_200_tpt_200_halfLds_dp_ip_CI_unitstride_sbrr_C2R_dirReg: ; @fft_rtc_back_len4000_factors_10_10_10_4_wgs_200_tpt_200_halfLds_dp_ip_CI_unitstride_sbrr_C2R_dirReg
; %bb.0:
	s_clause 0x2
	s_load_dwordx4 s[8:11], s[4:5], 0x0
	s_load_dwordx2 s[2:3], s[4:5], 0x50
	s_load_dwordx2 s[12:13], s[4:5], 0x18
	v_mul_u32_u24_e32 v1, 0x148, v0
	v_mov_b32_e32 v3, 0
	v_add_nc_u32_sdwa v5, s6, v1 dst_sel:DWORD dst_unused:UNUSED_PAD src0_sel:DWORD src1_sel:WORD_1
	v_mov_b32_e32 v1, 0
	v_mov_b32_e32 v6, v3
	v_mov_b32_e32 v2, 0
	s_waitcnt lgkmcnt(0)
	v_cmp_lt_u64_e64 s0, s[10:11], 2
	s_and_b32 vcc_lo, exec_lo, s0
	s_cbranch_vccnz .LBB0_8
; %bb.1:
	s_load_dwordx2 s[0:1], s[4:5], 0x10
	v_mov_b32_e32 v1, 0
	s_add_u32 s6, s12, 8
	v_mov_b32_e32 v2, 0
	s_addc_u32 s7, s13, 0
	s_mov_b64 s[16:17], 1
	s_waitcnt lgkmcnt(0)
	s_add_u32 s14, s0, 8
	s_addc_u32 s15, s1, 0
.LBB0_2:                                ; =>This Inner Loop Header: Depth=1
	s_load_dwordx2 s[18:19], s[14:15], 0x0
                                        ; implicit-def: $vgpr7_vgpr8
	s_mov_b32 s0, exec_lo
	s_waitcnt lgkmcnt(0)
	v_or_b32_e32 v4, s19, v6
	v_cmpx_ne_u64_e32 0, v[3:4]
	s_xor_b32 s1, exec_lo, s0
	s_cbranch_execz .LBB0_4
; %bb.3:                                ;   in Loop: Header=BB0_2 Depth=1
	v_cvt_f32_u32_e32 v4, s18
	v_cvt_f32_u32_e32 v7, s19
	s_sub_u32 s0, 0, s18
	s_subb_u32 s20, 0, s19
	v_fmac_f32_e32 v4, 0x4f800000, v7
	v_rcp_f32_e32 v4, v4
	v_mul_f32_e32 v4, 0x5f7ffffc, v4
	v_mul_f32_e32 v7, 0x2f800000, v4
	v_trunc_f32_e32 v7, v7
	v_fmac_f32_e32 v4, 0xcf800000, v7
	v_cvt_u32_f32_e32 v7, v7
	v_cvt_u32_f32_e32 v4, v4
	v_mul_lo_u32 v8, s0, v7
	v_mul_hi_u32 v9, s0, v4
	v_mul_lo_u32 v10, s20, v4
	v_add_nc_u32_e32 v8, v9, v8
	v_mul_lo_u32 v9, s0, v4
	v_add_nc_u32_e32 v8, v8, v10
	v_mul_hi_u32 v10, v4, v9
	v_mul_lo_u32 v11, v4, v8
	v_mul_hi_u32 v12, v4, v8
	v_mul_hi_u32 v13, v7, v9
	v_mul_lo_u32 v9, v7, v9
	v_mul_hi_u32 v14, v7, v8
	v_mul_lo_u32 v8, v7, v8
	v_add_co_u32 v10, vcc_lo, v10, v11
	v_add_co_ci_u32_e32 v11, vcc_lo, 0, v12, vcc_lo
	v_add_co_u32 v9, vcc_lo, v10, v9
	v_add_co_ci_u32_e32 v9, vcc_lo, v11, v13, vcc_lo
	v_add_co_ci_u32_e32 v10, vcc_lo, 0, v14, vcc_lo
	v_add_co_u32 v8, vcc_lo, v9, v8
	v_add_co_ci_u32_e32 v9, vcc_lo, 0, v10, vcc_lo
	v_add_co_u32 v4, vcc_lo, v4, v8
	v_add_co_ci_u32_e32 v7, vcc_lo, v7, v9, vcc_lo
	v_mul_hi_u32 v8, s0, v4
	v_mul_lo_u32 v10, s20, v4
	v_mul_lo_u32 v9, s0, v7
	v_add_nc_u32_e32 v8, v8, v9
	v_mul_lo_u32 v9, s0, v4
	v_add_nc_u32_e32 v8, v8, v10
	v_mul_hi_u32 v10, v4, v9
	v_mul_lo_u32 v11, v4, v8
	v_mul_hi_u32 v12, v4, v8
	v_mul_hi_u32 v13, v7, v9
	v_mul_lo_u32 v9, v7, v9
	v_mul_hi_u32 v14, v7, v8
	v_mul_lo_u32 v8, v7, v8
	v_add_co_u32 v10, vcc_lo, v10, v11
	v_add_co_ci_u32_e32 v11, vcc_lo, 0, v12, vcc_lo
	v_add_co_u32 v9, vcc_lo, v10, v9
	v_add_co_ci_u32_e32 v9, vcc_lo, v11, v13, vcc_lo
	v_add_co_ci_u32_e32 v10, vcc_lo, 0, v14, vcc_lo
	v_add_co_u32 v8, vcc_lo, v9, v8
	v_add_co_ci_u32_e32 v9, vcc_lo, 0, v10, vcc_lo
	v_add_co_u32 v4, vcc_lo, v4, v8
	v_add_co_ci_u32_e32 v11, vcc_lo, v7, v9, vcc_lo
	v_mul_hi_u32 v13, v5, v4
	v_mad_u64_u32 v[9:10], null, v6, v4, 0
	v_mad_u64_u32 v[7:8], null, v5, v11, 0
	;; [unrolled: 1-line block ×3, first 2 shown]
	v_add_co_u32 v4, vcc_lo, v13, v7
	v_add_co_ci_u32_e32 v7, vcc_lo, 0, v8, vcc_lo
	v_add_co_u32 v4, vcc_lo, v4, v9
	v_add_co_ci_u32_e32 v4, vcc_lo, v7, v10, vcc_lo
	v_add_co_ci_u32_e32 v7, vcc_lo, 0, v12, vcc_lo
	v_add_co_u32 v4, vcc_lo, v4, v11
	v_add_co_ci_u32_e32 v9, vcc_lo, 0, v7, vcc_lo
	v_mul_lo_u32 v10, s19, v4
	v_mad_u64_u32 v[7:8], null, s18, v4, 0
	v_mul_lo_u32 v11, s18, v9
	v_sub_co_u32 v7, vcc_lo, v5, v7
	v_add3_u32 v8, v8, v11, v10
	v_sub_nc_u32_e32 v10, v6, v8
	v_subrev_co_ci_u32_e64 v10, s0, s19, v10, vcc_lo
	v_add_co_u32 v11, s0, v4, 2
	v_add_co_ci_u32_e64 v12, s0, 0, v9, s0
	v_sub_co_u32 v13, s0, v7, s18
	v_sub_co_ci_u32_e32 v8, vcc_lo, v6, v8, vcc_lo
	v_subrev_co_ci_u32_e64 v10, s0, 0, v10, s0
	v_cmp_le_u32_e32 vcc_lo, s18, v13
	v_cmp_eq_u32_e64 s0, s19, v8
	v_cndmask_b32_e64 v13, 0, -1, vcc_lo
	v_cmp_le_u32_e32 vcc_lo, s19, v10
	v_cndmask_b32_e64 v14, 0, -1, vcc_lo
	v_cmp_le_u32_e32 vcc_lo, s18, v7
	;; [unrolled: 2-line block ×3, first 2 shown]
	v_cndmask_b32_e64 v15, 0, -1, vcc_lo
	v_cmp_eq_u32_e32 vcc_lo, s19, v10
	v_cndmask_b32_e64 v7, v15, v7, s0
	v_cndmask_b32_e32 v10, v14, v13, vcc_lo
	v_add_co_u32 v13, vcc_lo, v4, 1
	v_add_co_ci_u32_e32 v14, vcc_lo, 0, v9, vcc_lo
	v_cmp_ne_u32_e32 vcc_lo, 0, v10
	v_cndmask_b32_e32 v8, v14, v12, vcc_lo
	v_cndmask_b32_e32 v10, v13, v11, vcc_lo
	v_cmp_ne_u32_e32 vcc_lo, 0, v7
	v_cndmask_b32_e32 v8, v9, v8, vcc_lo
	v_cndmask_b32_e32 v7, v4, v10, vcc_lo
.LBB0_4:                                ;   in Loop: Header=BB0_2 Depth=1
	s_andn2_saveexec_b32 s0, s1
	s_cbranch_execz .LBB0_6
; %bb.5:                                ;   in Loop: Header=BB0_2 Depth=1
	v_cvt_f32_u32_e32 v4, s18
	s_sub_i32 s1, 0, s18
	v_rcp_iflag_f32_e32 v4, v4
	v_mul_f32_e32 v4, 0x4f7ffffe, v4
	v_cvt_u32_f32_e32 v4, v4
	v_mul_lo_u32 v7, s1, v4
	v_mul_hi_u32 v7, v4, v7
	v_add_nc_u32_e32 v4, v4, v7
	v_mul_hi_u32 v4, v5, v4
	v_mul_lo_u32 v7, v4, s18
	v_add_nc_u32_e32 v8, 1, v4
	v_sub_nc_u32_e32 v7, v5, v7
	v_subrev_nc_u32_e32 v9, s18, v7
	v_cmp_le_u32_e32 vcc_lo, s18, v7
	v_cndmask_b32_e32 v7, v7, v9, vcc_lo
	v_cndmask_b32_e32 v4, v4, v8, vcc_lo
	v_cmp_le_u32_e32 vcc_lo, s18, v7
	v_add_nc_u32_e32 v8, 1, v4
	v_cndmask_b32_e32 v7, v4, v8, vcc_lo
	v_mov_b32_e32 v8, v3
.LBB0_6:                                ;   in Loop: Header=BB0_2 Depth=1
	s_or_b32 exec_lo, exec_lo, s0
	s_load_dwordx2 s[0:1], s[6:7], 0x0
	v_mul_lo_u32 v4, v8, s18
	v_mul_lo_u32 v11, v7, s19
	v_mad_u64_u32 v[9:10], null, v7, s18, 0
	s_add_u32 s16, s16, 1
	s_addc_u32 s17, s17, 0
	s_add_u32 s6, s6, 8
	s_addc_u32 s7, s7, 0
	;; [unrolled: 2-line block ×3, first 2 shown]
	v_add3_u32 v4, v10, v11, v4
	v_sub_co_u32 v5, vcc_lo, v5, v9
	v_sub_co_ci_u32_e32 v4, vcc_lo, v6, v4, vcc_lo
	s_waitcnt lgkmcnt(0)
	v_mul_lo_u32 v6, s1, v5
	v_mul_lo_u32 v4, s0, v4
	v_mad_u64_u32 v[1:2], null, s0, v5, v[1:2]
	v_cmp_ge_u64_e64 s0, s[16:17], s[10:11]
	s_and_b32 vcc_lo, exec_lo, s0
	v_add3_u32 v2, v6, v2, v4
	s_cbranch_vccnz .LBB0_9
; %bb.7:                                ;   in Loop: Header=BB0_2 Depth=1
	v_mov_b32_e32 v5, v7
	v_mov_b32_e32 v6, v8
	s_branch .LBB0_2
.LBB0_8:
	v_mov_b32_e32 v8, v6
	v_mov_b32_e32 v7, v5
.LBB0_9:
	s_lshl_b64 s[0:1], s[10:11], 3
	v_mul_hi_u32 v5, 0x147ae15, v0
	s_add_u32 s0, s12, s0
	s_addc_u32 s1, s13, s1
	s_load_dwordx2 s[0:1], s[0:1], 0x0
	s_load_dwordx2 s[4:5], s[4:5], 0x20
	s_waitcnt lgkmcnt(0)
	v_mul_lo_u32 v3, s0, v8
	v_mul_lo_u32 v4, s1, v7
	v_mad_u64_u32 v[1:2], null, s0, v7, v[1:2]
	v_cmp_gt_u64_e32 vcc_lo, s[4:5], v[7:8]
	v_add3_u32 v2, v4, v2, v3
	v_mul_u32_u24_e32 v3, 0xc8, v5
	v_lshlrev_b64 v[78:79], 4, v[1:2]
	v_sub_nc_u32_e32 v76, v0, v3
	s_and_saveexec_b32 s1, vcc_lo
	s_cbranch_execz .LBB0_13
; %bb.10:
	v_mov_b32_e32 v77, 0
	v_add_co_u32 v0, s0, s2, v78
	v_add_co_ci_u32_e64 v1, s0, s3, v79, s0
	v_lshlrev_b64 v[2:3], 4, v[76:77]
	v_add_co_u32 v26, s0, v0, v2
	v_add_co_ci_u32_e64 v27, s0, v1, v3, s0
	v_add_co_u32 v6, s0, 0x800, v26
	v_add_co_ci_u32_e64 v7, s0, 0, v27, s0
	;; [unrolled: 2-line block ×20, first 2 shown]
	s_clause 0x13
	global_load_dwordx4 v[2:5], v[26:27], off
	global_load_dwordx4 v[6:9], v[6:7], off offset:1152
	global_load_dwordx4 v[10:13], v[10:11], off offset:256
	;; [unrolled: 1-line block ×15, first 2 shown]
	global_load_dwordx4 v[66:69], v[66:67], off
	global_load_dwordx4 v[70:73], v[70:71], off offset:1152
	global_load_dwordx4 v[80:83], v[74:75], off offset:256
	;; [unrolled: 1-line block ×3, first 2 shown]
	v_lshl_add_u32 v74, v76, 4, 0
	v_cmp_eq_u32_e64 s0, 0xc7, v76
	s_waitcnt vmcnt(19)
	ds_write_b128 v74, v[2:5]
	s_waitcnt vmcnt(18)
	ds_write_b128 v74, v[6:9] offset:3200
	s_waitcnt vmcnt(17)
	ds_write_b128 v74, v[10:13] offset:6400
	;; [unrolled: 2-line block ×19, first 2 shown]
	s_and_saveexec_b32 s4, s0
	s_cbranch_execz .LBB0_12
; %bb.11:
	v_add_co_u32 v0, s0, 0xf800, v0
	v_add_co_ci_u32_e64 v1, s0, 0, v1, s0
	v_mov_b32_e32 v76, 0xc7
	global_load_dwordx4 v[0:3], v[0:1], off offset:512
	s_waitcnt vmcnt(0)
	ds_write_b128 v77, v[0:3] offset:64000
.LBB0_12:
	s_or_b32 exec_lo, exec_lo, s4
.LBB0_13:
	s_or_b32 exec_lo, exec_lo, s1
	v_lshlrev_b32_e32 v0, 4, v76
	s_waitcnt lgkmcnt(0)
	s_barrier
	buffer_gl0_inv
	s_add_u32 s1, s8, 0xf960
	v_add_nc_u32_e32 v146, 0, v0
	v_sub_nc_u32_e32 v8, 0, v0
	s_addc_u32 s4, s9, 0
	s_mov_b32 s5, exec_lo
	ds_read_b64 v[4:5], v146
	ds_read_b64 v[6:7], v8 offset:64000
	s_waitcnt lgkmcnt(0)
	v_add_f64 v[0:1], v[4:5], v[6:7]
	v_add_f64 v[2:3], v[4:5], -v[6:7]
	v_cmpx_ne_u32_e32 0, v76
	s_xor_b32 s5, exec_lo, s5
	s_cbranch_execz .LBB0_15
; %bb.14:
	v_mov_b32_e32 v77, 0
	v_add_f64 v[13:14], v[4:5], v[6:7]
	v_add_f64 v[15:16], v[4:5], -v[6:7]
	v_lshlrev_b64 v[0:1], 4, v[76:77]
	v_add_co_u32 v0, s0, s1, v0
	v_add_co_ci_u32_e64 v1, s0, s4, v1, s0
	global_load_dwordx4 v[9:12], v[0:1], off
	ds_read_b64 v[0:1], v8 offset:64008
	ds_read_b64 v[2:3], v146 offset:8
	s_waitcnt lgkmcnt(0)
	v_add_f64 v[4:5], v[0:1], v[2:3]
	v_add_f64 v[0:1], v[2:3], -v[0:1]
	s_waitcnt vmcnt(0)
	v_fma_f64 v[2:3], v[15:16], v[11:12], v[13:14]
	v_fma_f64 v[6:7], -v[15:16], v[11:12], v[13:14]
	v_fma_f64 v[13:14], v[4:5], v[11:12], -v[0:1]
	v_fma_f64 v[11:12], v[4:5], v[11:12], v[0:1]
	v_fma_f64 v[0:1], -v[4:5], v[9:10], v[2:3]
	v_fma_f64 v[4:5], v[4:5], v[9:10], v[6:7]
	v_fma_f64 v[6:7], v[15:16], v[9:10], v[13:14]
	;; [unrolled: 1-line block ×3, first 2 shown]
	ds_write_b128 v8, v[4:7] offset:64000
.LBB0_15:
	s_andn2_saveexec_b32 s0, s5
	s_cbranch_execz .LBB0_17
; %bb.16:
	v_mov_b32_e32 v9, 0
	ds_read_b128 v[4:7], v9 offset:32000
	s_waitcnt lgkmcnt(0)
	v_add_f64 v[4:5], v[4:5], v[4:5]
	v_mul_f64 v[6:7], v[6:7], -2.0
	ds_write_b128 v9, v[4:7] offset:32000
.LBB0_17:
	s_or_b32 exec_lo, exec_lo, s0
	v_add_nc_u32_e32 v80, 0xc8, v76
	v_mov_b32_e32 v81, 0
	v_add_nc_u32_e32 v9, 0x190, v76
	v_add_nc_u32_e32 v13, 0x258, v76
	;; [unrolled: 1-line block ×3, first 2 shown]
	ds_write_b128 v146, v[0:3]
	v_lshlrev_b64 v[4:5], 4, v[80:81]
	v_mov_b32_e32 v10, v81
	v_mov_b32_e32 v14, v81
	;; [unrolled: 1-line block ×3, first 2 shown]
	s_mov_b32 s12, 0x134454ff
	s_mov_b32 s13, 0xbfee6f0e
	v_add_co_u32 v4, s0, s1, v4
	v_add_co_ci_u32_e64 v5, s0, s4, v5, s0
	v_lshlrev_b64 v[9:10], 4, v[9:10]
	v_lshlrev_b64 v[13:14], 4, v[13:14]
	;; [unrolled: 1-line block ×3, first 2 shown]
	global_load_dwordx4 v[4:7], v[4:5], off
	s_mov_b32 s7, 0x3fee6f0e
	s_mov_b32 s6, s12
	v_add_co_u32 v9, s0, s1, v9
	v_add_co_ci_u32_e64 v10, s0, s4, v10, s0
	v_add_co_u32 v13, s0, s1, v13
	v_add_co_ci_u32_e64 v14, s0, s4, v14, s0
	global_load_dwordx4 v[9:12], v[9:10], off
	v_add_co_u32 v21, s0, s1, v17
	global_load_dwordx4 v[13:16], v[13:14], off
	v_add_co_ci_u32_e64 v22, s0, s4, v18, s0
	ds_read_b128 v[0:3], v146 offset:3200
	ds_read_b128 v[17:20], v8 offset:60800
	s_mov_b32 s18, 0x4755a5e
	s_mov_b32 s19, 0xbfe2cf23
	global_load_dwordx4 v[21:24], v[21:22], off
	s_mov_b32 s5, 0x3fe2cf23
	s_mov_b32 s10, 0x372fe950
	;; [unrolled: 1-line block ×9, first 2 shown]
	v_and_b32_e32 v77, 0xff, v76
	v_mul_lo_u16 v77, 0xcd, v77
	s_waitcnt lgkmcnt(0)
	v_add_f64 v[25:26], v[0:1], v[17:18]
	v_add_f64 v[27:28], v[19:20], v[2:3]
	v_add_f64 v[29:30], v[0:1], -v[17:18]
	v_add_f64 v[0:1], v[2:3], -v[19:20]
	s_waitcnt vmcnt(3)
	v_fma_f64 v[2:3], v[29:30], v[6:7], v[25:26]
	v_fma_f64 v[17:18], v[27:28], v[6:7], v[0:1]
	v_fma_f64 v[19:20], -v[29:30], v[6:7], v[25:26]
	v_fma_f64 v[6:7], v[27:28], v[6:7], -v[0:1]
	v_fma_f64 v[0:1], -v[27:28], v[4:5], v[2:3]
	v_fma_f64 v[2:3], v[29:30], v[4:5], v[17:18]
	v_fma_f64 v[17:18], v[27:28], v[4:5], v[19:20]
	;; [unrolled: 1-line block ×3, first 2 shown]
	v_add_nc_u32_e32 v4, 0x3e8, v76
	v_mov_b32_e32 v5, v81
	ds_write_b128 v146, v[0:3] offset:3200
	ds_write_b128 v8, v[17:20] offset:60800
	v_lshlrev_b64 v[4:5], 4, v[4:5]
	v_add_co_u32 v25, s0, s1, v4
	v_add_co_ci_u32_e64 v26, s0, s4, v5, s0
	ds_read_b128 v[0:3], v146 offset:6400
	ds_read_b128 v[4:7], v8 offset:57600
	global_load_dwordx4 v[17:20], v[25:26], off
	s_waitcnt lgkmcnt(0)
	v_add_f64 v[25:26], v[0:1], v[4:5]
	v_add_f64 v[27:28], v[6:7], v[2:3]
	v_add_f64 v[29:30], v[0:1], -v[4:5]
	v_add_f64 v[0:1], v[2:3], -v[6:7]
	s_waitcnt vmcnt(3)
	v_fma_f64 v[2:3], v[29:30], v[11:12], v[25:26]
	v_fma_f64 v[4:5], v[27:28], v[11:12], v[0:1]
	v_fma_f64 v[6:7], -v[29:30], v[11:12], v[25:26]
	v_fma_f64 v[11:12], v[27:28], v[11:12], -v[0:1]
	v_fma_f64 v[0:1], -v[27:28], v[9:10], v[2:3]
	v_fma_f64 v[2:3], v[29:30], v[9:10], v[4:5]
	v_fma_f64 v[4:5], v[27:28], v[9:10], v[6:7]
	v_fma_f64 v[6:7], v[29:30], v[9:10], v[11:12]
	v_add_nc_u32_e32 v9, 0x4b0, v76
	v_mov_b32_e32 v10, v81
	ds_write_b128 v146, v[0:3] offset:6400
	ds_write_b128 v8, v[4:7] offset:57600
	v_lshlrev_b64 v[9:10], 4, v[9:10]
	ds_read_b128 v[0:3], v146 offset:9600
	ds_read_b128 v[4:7], v8 offset:54400
	v_add_co_u32 v9, s0, s1, v9
	v_add_co_ci_u32_e64 v10, s0, s4, v10, s0
	global_load_dwordx4 v[9:12], v[9:10], off
	s_waitcnt lgkmcnt(0)
	v_add_f64 v[25:26], v[0:1], v[4:5]
	v_add_f64 v[27:28], v[6:7], v[2:3]
	v_add_f64 v[29:30], v[0:1], -v[4:5]
	v_add_f64 v[0:1], v[2:3], -v[6:7]
	s_waitcnt vmcnt(3)
	v_fma_f64 v[2:3], v[29:30], v[15:16], v[25:26]
	v_fma_f64 v[4:5], v[27:28], v[15:16], v[0:1]
	v_fma_f64 v[6:7], -v[29:30], v[15:16], v[25:26]
	v_fma_f64 v[15:16], v[27:28], v[15:16], -v[0:1]
	v_fma_f64 v[0:1], -v[27:28], v[13:14], v[2:3]
	v_fma_f64 v[2:3], v[29:30], v[13:14], v[4:5]
	v_fma_f64 v[4:5], v[27:28], v[13:14], v[6:7]
	v_fma_f64 v[6:7], v[29:30], v[13:14], v[15:16]
	v_add_nc_u32_e32 v13, 0x578, v76
	v_mov_b32_e32 v14, v81
	ds_write_b128 v146, v[0:3] offset:9600
	ds_write_b128 v8, v[4:7] offset:54400
	v_lshlrev_b64 v[13:14], 4, v[13:14]
	ds_read_b128 v[0:3], v146 offset:12800
	ds_read_b128 v[4:7], v8 offset:51200
	v_add_co_u32 v13, s0, s1, v13
	v_add_co_ci_u32_e64 v14, s0, s4, v14, s0
	;; [unrolled: 24-line block ×4, first 2 shown]
	s_mov_b32 s4, s18
	v_cmp_gt_u32_e64 s0, 0x64, v76
	global_load_dwordx4 v[17:20], v[17:18], off
	s_waitcnt lgkmcnt(0)
	v_add_f64 v[25:26], v[0:1], v[4:5]
	v_add_f64 v[27:28], v[6:7], v[2:3]
	v_add_f64 v[29:30], v[0:1], -v[4:5]
	v_add_f64 v[0:1], v[2:3], -v[6:7]
	s_waitcnt vmcnt(3)
	v_fma_f64 v[2:3], v[29:30], v[11:12], v[25:26]
	v_fma_f64 v[4:5], v[27:28], v[11:12], v[0:1]
	v_fma_f64 v[6:7], -v[29:30], v[11:12], v[25:26]
	v_fma_f64 v[11:12], v[27:28], v[11:12], -v[0:1]
	v_fma_f64 v[0:1], -v[27:28], v[9:10], v[2:3]
	v_fma_f64 v[2:3], v[29:30], v[9:10], v[4:5]
	v_fma_f64 v[4:5], v[27:28], v[9:10], v[6:7]
	v_fma_f64 v[6:7], v[29:30], v[9:10], v[11:12]
	ds_write_b128 v146, v[0:3] offset:19200
	ds_write_b128 v8, v[4:7] offset:44800
	ds_read_b128 v[0:3], v146 offset:22400
	ds_read_b128 v[4:7], v8 offset:41600
	s_waitcnt lgkmcnt(0)
	v_add_f64 v[9:10], v[0:1], v[4:5]
	v_add_f64 v[11:12], v[6:7], v[2:3]
	v_add_f64 v[25:26], v[0:1], -v[4:5]
	v_add_f64 v[0:1], v[2:3], -v[6:7]
	s_waitcnt vmcnt(2)
	v_fma_f64 v[2:3], v[25:26], v[15:16], v[9:10]
	v_fma_f64 v[4:5], v[11:12], v[15:16], v[0:1]
	v_fma_f64 v[6:7], -v[25:26], v[15:16], v[9:10]
	v_fma_f64 v[9:10], v[11:12], v[15:16], -v[0:1]
	v_fma_f64 v[0:1], -v[11:12], v[13:14], v[2:3]
	v_fma_f64 v[2:3], v[25:26], v[13:14], v[4:5]
	v_fma_f64 v[4:5], v[11:12], v[13:14], v[6:7]
	v_fma_f64 v[6:7], v[25:26], v[13:14], v[9:10]
	ds_write_b128 v146, v[0:3] offset:22400
	ds_write_b128 v8, v[4:7] offset:41600
	ds_read_b128 v[0:3], v146 offset:25600
	ds_read_b128 v[4:7], v8 offset:38400
	;; [unrolled: 18-line block ×3, first 2 shown]
	s_waitcnt lgkmcnt(0)
	v_add_f64 v[9:10], v[0:1], v[4:5]
	v_add_f64 v[11:12], v[6:7], v[2:3]
	v_add_f64 v[13:14], v[0:1], -v[4:5]
	v_add_f64 v[0:1], v[2:3], -v[6:7]
	s_waitcnt vmcnt(0)
	v_fma_f64 v[2:3], v[13:14], v[19:20], v[9:10]
	v_fma_f64 v[4:5], v[11:12], v[19:20], v[0:1]
	v_fma_f64 v[6:7], -v[13:14], v[19:20], v[9:10]
	v_fma_f64 v[9:10], v[11:12], v[19:20], -v[0:1]
	v_fma_f64 v[0:1], -v[11:12], v[17:18], v[2:3]
	v_fma_f64 v[2:3], v[13:14], v[17:18], v[4:5]
	v_fma_f64 v[4:5], v[11:12], v[17:18], v[6:7]
	;; [unrolled: 1-line block ×3, first 2 shown]
	ds_write_b128 v146, v[0:3] offset:28800
	ds_write_b128 v8, v[4:7] offset:35200
	s_waitcnt lgkmcnt(0)
	s_barrier
	buffer_gl0_inv
	s_barrier
	buffer_gl0_inv
	ds_read_b128 v[32:35], v146
	ds_read_b128 v[56:59], v146 offset:12800
	ds_read_b128 v[64:67], v146 offset:25600
	;; [unrolled: 1-line block ×19, first 2 shown]
	s_waitcnt lgkmcnt(0)
	v_add_f64 v[96:97], v[34:35], v[58:59]
	v_add_f64 v[114:115], v[56:57], -v[64:65]
	v_add_f64 v[98:99], v[64:65], v[8:9]
	v_add_f64 v[102:103], v[66:67], v[10:11]
	v_add_f64 v[124:125], v[58:59], -v[66:67]
	v_add_f64 v[153:154], v[36:37], v[0:1]
	v_add_f64 v[163:164], v[44:45], v[36:37]
	;; [unrolled: 1-line block ×4, first 2 shown]
	v_add_f64 v[134:135], v[66:67], -v[58:59]
	v_add_f64 v[54:55], v[58:59], -v[6:7]
	v_add_f64 v[104:105], v[68:69], v[72:73]
	v_add_f64 v[108:109], v[70:71], v[74:75]
	v_add_f64 v[149:150], v[72:73], -v[90:91]
	v_add_f64 v[138:139], v[90:91], -v[72:73]
	v_add_f64 v[110:111], v[90:91], v[28:29]
	v_add_f64 v[112:113], v[92:93], v[30:31]
	v_add_f64 v[151:152], v[74:75], -v[92:93]
	v_add_f64 v[140:141], v[92:93], -v[74:75]
	;; [unrolled: 1-line block ×3, first 2 shown]
	v_add_f64 v[120:121], v[72:73], v[20:21]
	v_add_f64 v[62:63], v[72:73], -v[20:21]
	v_add_f64 v[72:73], v[74:75], v[22:23]
	v_add_f64 v[74:75], v[116:117], v[24:25]
	;; [unrolled: 1-line block ×5, first 2 shown]
	v_add_f64 v[142:143], v[4:5], -v[8:9]
	v_add_f64 v[147:148], v[6:7], -v[10:11]
	;; [unrolled: 1-line block ×4, first 2 shown]
	v_add_f64 v[159:160], v[82:83], v[86:87]
	v_add_f64 v[161:162], v[84:85], v[88:89]
	;; [unrolled: 1-line block ×5, first 2 shown]
	v_fma_f64 v[90:91], v[98:99], -0.5, v[32:33]
	v_fma_f64 v[92:93], v[102:103], -0.5, v[34:35]
	;; [unrolled: 1-line block ×3, first 2 shown]
	v_add_f64 v[167:168], v[86:87], -v[116:117]
	v_add_f64 v[128:129], v[116:117], -v[86:87]
	v_fma_f64 v[98:99], v[110:111], -0.5, v[68:69]
	v_fma_f64 v[106:107], v[120:121], -0.5, v[68:69]
	;; [unrolled: 1-line block ×8, first 2 shown]
	v_add_f64 v[68:69], v[86:87], -v[16:17]
	v_fma_f64 v[84:85], v[144:145], -0.5, v[44:45]
	v_fma_f64 v[86:87], v[153:154], -0.5, v[44:45]
	v_add_f64 v[153:154], v[36:37], -v[40:41]
	v_add_f64 v[130:131], v[40:41], -v[36:37]
	;; [unrolled: 1-line block ×3, first 2 shown]
	v_add_f64 v[120:121], v[163:164], v[40:41]
	v_add_f64 v[40:41], v[20:21], -v[28:29]
	v_add_f64 v[132:133], v[64:65], -v[56:57]
	v_add_f64 v[155:156], v[42:43], v[14:15]
	v_add_f64 v[34:35], v[42:43], -v[14:15]
	v_add_f64 v[144:145], v[38:39], -v[42:43]
	v_add_f64 v[122:123], v[165:166], v[42:43]
	v_add_f64 v[126:127], v[42:43], -v[38:39]
	v_add_f64 v[42:43], v[114:115], v[142:143]
	;; [unrolled: 2-line block ×4, first 2 shown]
	v_add_f64 v[100:101], v[56:57], v[4:5]
	v_add_f64 v[157:158], v[38:39], v[2:3]
	v_add_f64 v[48:49], v[66:67], -v[10:11]
	v_add_f64 v[50:51], v[64:65], -v[8:9]
	v_add_f64 v[96:97], v[96:97], v[66:67]
	v_add_f64 v[169:170], v[88:89], -v[118:119]
	v_add_f64 v[136:137], v[118:119], -v[88:89]
	;; [unrolled: 1-line block ×5, first 2 shown]
	v_add_f64 v[40:41], v[149:150], v[40:41]
	v_add_f64 v[149:150], v[10:11], -v[6:7]
	v_fma_f64 v[88:89], v[155:156], -0.5, v[46:47]
	v_add_f64 v[36:37], v[36:37], -v[0:1]
	v_add_f64 v[155:156], v[24:25], -v[16:17]
	s_barrier
	buffer_gl0_inv
	v_add_f64 v[124:125], v[151:152], v[142:143]
	v_add_f64 v[151:152], v[28:29], -v[20:21]
	v_add_f64 v[132:133], v[132:133], v[147:148]
	v_add_f64 v[147:148], v[30:31], -v[22:23]
	v_add_f64 v[94:95], v[94:95], v[64:65]
	v_add_f64 v[64:65], v[118:119], -v[26:27]
	v_fma_f64 v[100:101], v[100:101], -0.5, v[32:33]
	v_add_f64 v[32:33], v[116:117], -v[24:25]
	v_fma_f64 v[46:47], v[157:158], -0.5, v[46:47]
	v_add_f64 v[116:117], v[159:160], v[116:117]
	v_add_f64 v[118:119], v[161:162], v[118:119]
	v_add_f64 v[157:158], v[26:27], -v[18:19]
	v_add_f64 v[30:31], v[108:109], v[30:31]
	v_add_f64 v[10:11], v[96:97], v[10:11]
	;; [unrolled: 1-line block ×4, first 2 shown]
	v_add_f64 v[149:150], v[16:17], -v[24:25]
	v_fma_f64 v[96:97], v[60:61], s[12:13], v[98:99]
	v_fma_f64 v[104:105], v[54:55], s[12:13], v[90:91]
	;; [unrolled: 1-line block ×6, first 2 shown]
	v_add_f64 v[134:135], v[138:139], v[151:152]
	v_add_f64 v[151:152], v[18:19], -v[26:27]
	v_add_f64 v[138:139], v[140:141], v[147:148]
	v_add_f64 v[8:9], v[94:95], v[8:9]
	v_add_f64 v[140:141], v[0:1], -v[12:13]
	v_fma_f64 v[94:95], v[62:63], s[6:7], v[110:111]
	v_fma_f64 v[110:111], v[62:63], s[12:13], v[110:111]
	v_add_f64 v[155:156], v[128:129], v[155:156]
	v_add_f64 v[24:25], v[116:117], v[24:25]
	;; [unrolled: 1-line block ×4, first 2 shown]
	v_add_f64 v[157:158], v[14:15], -v[2:3]
	v_fma_f64 v[116:117], v[58:59], s[12:13], v[112:113]
	v_fma_f64 v[118:119], v[48:49], s[6:7], v[100:101]
	;; [unrolled: 1-line block ×3, first 2 shown]
	v_add_f64 v[147:148], v[167:168], v[149:150]
	v_add_f64 v[149:150], v[2:3], -v[14:15]
	v_add_f64 v[14:15], v[122:123], v[14:15]
	v_fma_f64 v[112:113], v[58:59], s[6:7], v[112:113]
	v_add_f64 v[22:23], v[30:31], v[22:23]
	v_fma_f64 v[30:31], v[44:45], s[12:13], v[46:47]
	v_fma_f64 v[46:47], v[44:45], s[6:7], v[46:47]
	;; [unrolled: 1-line block ×4, first 2 shown]
	v_add_f64 v[6:7], v[10:11], v[6:7]
	v_add_f64 v[4:5], v[8:9], v[4:5]
	v_fma_f64 v[8:9], v[38:39], s[12:13], v[84:85]
	v_add_f64 v[20:21], v[28:29], v[20:21]
	v_fma_f64 v[94:95], v[58:59], s[4:5], v[94:95]
	v_fma_f64 v[96:97], v[52:53], s[18:19], v[96:97]
	v_add_f64 v[16:17], v[24:25], v[16:17]
	v_add_f64 v[18:19], v[26:27], v[18:19]
	v_fma_f64 v[24:25], v[34:35], s[6:7], v[86:87]
	v_fma_f64 v[26:27], v[64:65], s[6:7], v[74:75]
	;; [unrolled: 1-line block ×4, first 2 shown]
	v_add_f64 v[153:154], v[153:154], v[140:141]
	v_fma_f64 v[84:85], v[38:39], s[6:7], v[84:85]
	v_add_f64 v[144:145], v[144:145], v[149:150]
	v_add_f64 v[149:150], v[12:13], -v[0:1]
	v_add_f64 v[12:13], v[120:121], v[12:13]
	v_fma_f64 v[120:121], v[50:51], s[12:13], v[102:103]
	v_fma_f64 v[102:103], v[50:51], s[6:7], v[102:103]
	v_add_f64 v[14:15], v[14:15], v[2:3]
	v_fma_f64 v[2:3], v[64:65], s[12:13], v[74:75]
	v_fma_f64 v[74:75], v[32:33], s[6:7], v[82:83]
	;; [unrolled: 1-line block ×7, first 2 shown]
	v_add_f64 v[126:127], v[126:127], v[157:158]
	v_fma_f64 v[10:11], v[66:67], s[12:13], v[70:71]
	v_fma_f64 v[30:31], v[36:37], s[4:5], v[30:31]
	;; [unrolled: 1-line block ×5, first 2 shown]
	v_add_f64 v[151:152], v[169:170], v[151:152]
	v_fma_f64 v[28:29], v[32:33], s[4:5], v[28:29]
	v_fma_f64 v[52:53], v[52:53], s[4:5], v[98:99]
	;; [unrolled: 1-line block ×3, first 2 shown]
	v_add_f64 v[130:131], v[130:131], v[149:150]
	v_fma_f64 v[149:150], v[36:37], s[6:7], v[88:89]
	v_add_f64 v[12:13], v[12:13], v[0:1]
	v_fma_f64 v[0:1], v[32:33], s[12:13], v[82:83]
	v_fma_f64 v[82:83], v[34:35], s[12:13], v[86:87]
	;; [unrolled: 1-line block ×13, first 2 shown]
	v_add_f64 v[2:3], v[6:7], v[22:23]
	v_add_f64 v[6:7], v[6:7], -v[22:23]
	v_fma_f64 v[22:23], v[40:41], s[10:11], v[96:97]
	v_fma_f64 v[24:25], v[38:39], s[18:19], v[24:25]
	;; [unrolled: 1-line block ×6, first 2 shown]
	v_add_f64 v[8:9], v[16:17], v[12:13]
	v_fma_f64 v[106:107], v[68:69], s[4:5], v[0:1]
	v_add_f64 v[0:1], v[4:5], v[20:21]
	v_fma_f64 v[44:45], v[44:45], s[18:19], v[86:87]
	v_add_f64 v[4:5], v[4:5], -v[20:21]
	v_fma_f64 v[20:21], v[124:125], s[10:11], v[94:95]
	v_add_f64 v[12:13], v[16:17], -v[12:13]
	v_fma_f64 v[38:39], v[38:39], s[4:5], v[82:83]
	v_fma_f64 v[16:17], v[138:139], s[10:11], v[102:103]
	;; [unrolled: 1-line block ×9, first 2 shown]
	v_mul_f64 v[86:87], v[22:23], s[4:5]
	v_add_f64 v[10:11], v[18:19], v[14:15]
	v_add_f64 v[14:15], v[18:19], -v[14:15]
	v_fma_f64 v[18:19], v[134:135], s[10:11], v[112:113]
	v_fma_f64 v[72:73], v[132:133], s[10:11], v[88:89]
	v_fma_f64 v[82:83], v[144:145], s[10:11], v[90:91]
	v_fma_f64 v[60:61], v[134:135], s[10:11], v[60:61]
	v_fma_f64 v[90:91], v[151:152], s[10:11], v[28:29]
	v_fma_f64 v[40:41], v[40:41], s[10:11], v[52:53]
	v_fma_f64 v[42:43], v[144:145], s[10:11], v[44:45]
	v_mul_f64 v[92:93], v[58:59], s[18:19]
	v_mul_f64 v[44:45], v[20:21], s[18:19]
	;; [unrolled: 1-line block ×3, first 2 shown]
	v_fma_f64 v[68:69], v[68:69], s[18:19], v[74:75]
	v_mul_f64 v[88:89], v[16:17], s[12:13]
	v_mul_f64 v[16:17], v[16:17], s[10:11]
	;; [unrolled: 1-line block ×5, first 2 shown]
	v_fma_f64 v[52:53], v[147:148], s[10:11], v[98:99]
	v_fma_f64 v[24:25], v[130:131], s[10:11], v[24:25]
	v_mul_f64 v[98:99], v[30:31], s[12:13]
	v_mul_f64 v[30:31], v[30:31], s[10:11]
	v_fma_f64 v[74:75], v[142:143], s[10:11], v[100:101]
	v_fma_f64 v[38:39], v[130:131], s[10:11], v[38:39]
	v_mul_f64 v[100:101], v[36:37], s[12:13]
	v_mul_f64 v[36:37], v[36:37], s[16:17]
	;; [unrolled: 1-line block ×3, first 2 shown]
	v_fma_f64 v[34:35], v[153:154], s[10:11], v[34:35]
	v_fma_f64 v[70:71], v[114:115], s[10:11], v[108:109]
	;; [unrolled: 1-line block ×3, first 2 shown]
	v_mul_f64 v[102:103], v[42:43], s[18:19]
	v_mul_f64 v[42:43], v[42:43], s[14:15]
	v_fma_f64 v[22:23], v[22:23], s[20:21], v[44:45]
	v_fma_f64 v[44:45], v[20:21], s[20:21], v[86:87]
	;; [unrolled: 1-line block ×24, first 2 shown]
	v_lshrrev_b16 v140, 11, v77
	v_add_f64 v[16:17], v[64:65], v[22:23]
	v_add_f64 v[18:19], v[70:71], v[44:45]
	;; [unrolled: 1-line block ×4, first 2 shown]
	v_mul_lo_u16 v77, v140, 10
	v_add_f64 v[32:33], v[54:55], v[66:67]
	v_add_f64 v[34:35], v[56:57], v[60:61]
	v_mov_b32_e32 v128, 9
	v_add_f64 v[40:41], v[48:49], v[46:47]
	v_sub_nc_u16 v129, v76, v77
	v_add_f64 v[42:43], v[50:51], v[58:59]
	v_add_f64 v[20:21], v[64:65], -v[22:23]
	v_add_f64 v[22:23], v[70:71], -v[44:45]
	;; [unrolled: 1-line block ×8, first 2 shown]
	v_mul_u32_u24_sdwa v77, v129, v128 dst_sel:DWORD dst_unused:UNUSED_PAD src0_sel:BYTE_0 src1_sel:DWORD
	v_add_f64 v[48:49], v[52:53], v[62:63]
	v_add_f64 v[50:51], v[90:91], v[68:69]
	;; [unrolled: 1-line block ×6, first 2 shown]
	v_add_f64 v[54:55], v[90:91], -v[68:69]
	v_add_f64 v[68:69], v[112:113], v[96:97]
	v_add_f64 v[70:71], v[114:115], v[98:99]
	v_add_f64 v[52:53], v[52:53], -v[62:63]
	v_mad_u32_u24 v141, 0x90, v76, v146
	v_lshlrev_b32_e32 v77, 4, v77
	v_add_f64 v[60:61], v[86:87], -v[82:83]
	v_add_f64 v[62:63], v[104:105], -v[84:85]
	v_add_f64 v[72:73], v[108:109], -v[92:93]
	v_add_f64 v[74:75], v[110:111], -v[94:95]
	v_add_f64 v[82:83], v[112:113], -v[96:97]
	v_add_f64 v[84:85], v[114:115], -v[98:99]
	ds_write_b128 v141, v[0:3]
	ds_write_b128 v141, v[4:7] offset:80
	ds_write_b128 v141, v[8:11] offset:32000
	;; [unrolled: 1-line block ×19, first 2 shown]
	s_waitcnt lgkmcnt(0)
	s_barrier
	buffer_gl0_inv
	s_clause 0x3
	global_load_dwordx4 v[0:3], v77, s[8:9]
	global_load_dwordx4 v[28:31], v77, s[8:9] offset:16
	global_load_dwordx4 v[24:27], v77, s[8:9] offset:32
	;; [unrolled: 1-line block ×3, first 2 shown]
	v_mov_b32_e32 v4, 0xcccd
	s_clause 0x2
	global_load_dwordx4 v[16:19], v77, s[8:9] offset:64
	global_load_dwordx4 v[12:15], v77, s[8:9] offset:80
	;; [unrolled: 1-line block ×3, first 2 shown]
	v_mov_b32_e32 v106, 0x640
	v_mul_u32_u24_sdwa v4, v80, v4 dst_sel:DWORD dst_unused:UNUSED_PAD src0_sel:WORD_0 src1_sel:DWORD
	v_mov_b32_e32 v105, v81
	v_mov_b32_e32 v134, 4
	v_mul_u32_u24_sdwa v145, v140, v106 dst_sel:DWORD dst_unused:UNUSED_PAD src0_sel:WORD_0 src1_sel:DWORD
	v_lshrrev_b32_e32 v83, 19, v4
	v_lshlrev_b32_sdwa v129, v134, v129 dst_sel:DWORD dst_unused:UNUSED_PAD src0_sel:DWORD src1_sel:BYTE_0
	v_mul_lo_u16 v4, v83, 10
	v_mul_u32_u24_e32 v155, 0x640, v83
	v_add3_u32 v145, 0, v145, v129
	v_sub_nc_u16 v82, v80, v4
	global_load_dwordx4 v[4:7], v77, s[8:9] offset:112
	v_mul_u32_u24_sdwa v32, v82, v128 dst_sel:DWORD dst_unused:UNUSED_PAD src0_sel:WORD_0 src1_sel:DWORD
	v_lshlrev_b32_e32 v64, 4, v32
	s_clause 0x9
	global_load_dwordx4 v[36:39], v64, s[8:9] offset:16
	global_load_dwordx4 v[40:43], v64, s[8:9] offset:48
	;; [unrolled: 1-line block ×4, first 2 shown]
	global_load_dwordx4 v[44:47], v64, s[8:9]
	global_load_dwordx4 v[68:71], v64, s[8:9] offset:112
	global_load_dwordx4 v[60:63], v64, s[8:9] offset:32
	;; [unrolled: 1-line block ×5, first 2 shown]
	ds_read_b128 v[72:75], v146 offset:6400
	ds_read_b128 v[84:87], v146 offset:12800
	;; [unrolled: 1-line block ×6, first 2 shown]
	v_add_nc_u32_e32 v77, 0xffffff9c, v76
	v_cndmask_b32_e64 v77, v77, v76, s0
	v_mul_i32_i24_e32 v104, 9, v77
	v_lshlrev_b32_e32 v77, 4, v77
	v_lshlrev_b64 v[137:138], 4, v[104:105]
	ds_read_b128 v[104:107], v146 offset:9600
	ds_read_b128 v[108:111], v146 offset:38400
	ds_read_b128 v[112:115], v146 offset:44800
	ds_read_b128 v[116:119], v146 offset:51200
	ds_read_b128 v[120:123], v146 offset:16000
	ds_read_b128 v[124:127], v146 offset:22400
	ds_read_b128 v[130:133], v146 offset:28800
	s_waitcnt vmcnt(17) lgkmcnt(12)
	v_mul_f64 v[135:136], v[74:75], v[2:3]
	v_mul_f64 v[2:3], v[72:73], v[2:3]
	s_waitcnt vmcnt(16) lgkmcnt(11)
	v_mul_f64 v[139:140], v[86:87], v[30:31]
	v_mul_f64 v[30:31], v[84:85], v[30:31]
	;; [unrolled: 3-line block ×5, first 2 shown]
	v_fma_f64 v[135:136], v[72:73], v[0:1], v[135:136]
	v_fma_f64 v[2:3], v[74:75], v[0:1], -v[2:3]
	v_add_co_u32 v0, s0, s8, v137
	v_add_co_ci_u32_e64 v1, s0, s9, v138, s0
	v_fma_f64 v[137:138], v[84:85], v[28:29], v[139:140]
	v_fma_f64 v[30:31], v[86:87], v[28:29], -v[30:31]
	s_waitcnt vmcnt(11) lgkmcnt(4)
	v_mul_f64 v[139:140], v[114:115], v[10:11]
	v_fma_f64 v[87:88], v[88:89], v[24:25], v[141:142]
	v_fma_f64 v[89:90], v[90:91], v[24:25], -v[143:144]
	s_waitcnt vmcnt(10) lgkmcnt(3)
	v_mul_f64 v[143:144], v[118:119], v[6:7]
	v_mul_f64 v[6:7], v[116:117], v[6:7]
	;; [unrolled: 1-line block ×3, first 2 shown]
	ds_read_b128 v[72:75], v146 offset:41600
	ds_read_b128 v[26:29], v146 offset:35200
	v_mul_f64 v[83:84], v[110:111], v[14:15]
	v_mul_f64 v[85:86], v[108:109], v[14:15]
	v_fma_f64 v[91:92], v[92:93], v[20:21], v[147:148]
	v_fma_f64 v[93:94], v[94:95], v[20:21], -v[149:150]
	ds_read_b128 v[18:21], v146 offset:48000
	v_fma_f64 v[95:96], v[96:97], v[16:17], v[151:152]
	v_fma_f64 v[97:98], v[98:99], v[16:17], -v[153:154]
	ds_read_b128 v[14:17], v146 offset:54400
	ds_read_b128 v[22:25], v146 offset:57600
	v_lshlrev_b32_sdwa v10, v134, v82 dst_sel:DWORD dst_unused:UNUSED_PAD src0_sel:DWORD src1_sel:WORD_0
	s_waitcnt vmcnt(9) lgkmcnt(7)
	v_mul_f64 v[147:148], v[122:123], v[38:39]
	v_mul_f64 v[38:39], v[120:121], v[38:39]
	s_waitcnt vmcnt(8) lgkmcnt(5)
	v_mul_f64 v[149:150], v[132:133], v[42:43]
	v_mul_f64 v[42:43], v[130:131], v[42:43]
	v_fma_f64 v[112:113], v[112:113], v[8:9], v[139:140]
	v_add3_u32 v161, 0, v155, v10
	v_cmp_lt_u32_e64 s0, 0x63, v76
	v_fma_f64 v[116:117], v[116:117], v[4:5], v[143:144]
	s_waitcnt vmcnt(6) lgkmcnt(4)
	v_mul_f64 v[139:140], v[74:75], v[50:51]
	v_mul_f64 v[50:51], v[72:73], v[50:51]
	v_fma_f64 v[4:5], v[118:119], v[4:5], -v[6:7]
	v_fma_f64 v[8:9], v[114:115], v[8:9], -v[141:142]
	v_fma_f64 v[108:109], v[108:109], v[12:13], v[83:84]
	v_fma_f64 v[110:111], v[110:111], v[12:13], -v[85:86]
	ds_read_b128 v[10:13], v146 offset:60800
	ds_read_b128 v[82:85], v146
	s_waitcnt vmcnt(5)
	v_mul_f64 v[6:7], v[106:107], v[46:47]
	v_mul_f64 v[46:47], v[104:105], v[46:47]
	s_waitcnt vmcnt(4) lgkmcnt(3)
	v_mul_f64 v[118:119], v[16:17], v[70:71]
	v_mul_f64 v[70:71], v[14:15], v[70:71]
	s_waitcnt lgkmcnt(2)
	v_mul_f64 v[114:115], v[24:25], v[34:35]
	v_mul_f64 v[34:35], v[22:23], v[34:35]
	v_add_f64 v[141:142], v[95:96], -v[87:88]
	v_fma_f64 v[120:121], v[120:121], v[36:37], v[147:148]
	v_fma_f64 v[36:37], v[122:123], v[36:37], -v[38:39]
	s_waitcnt vmcnt(3)
	v_mul_f64 v[38:39], v[126:127], v[62:63]
	v_mul_f64 v[62:63], v[124:125], v[62:63]
	s_waitcnt vmcnt(2)
	v_mul_f64 v[122:123], v[28:29], v[58:59]
	v_mul_f64 v[58:59], v[26:27], v[58:59]
	v_fma_f64 v[129:130], v[130:131], v[40:41], v[149:150]
	v_fma_f64 v[40:41], v[132:133], v[40:41], -v[42:43]
	s_waitcnt vmcnt(1)
	v_mul_f64 v[42:43], v[20:21], v[54:55]
	v_mul_f64 v[54:55], v[18:19], v[54:55]
	v_fma_f64 v[72:73], v[72:73], v[48:49], v[139:140]
	s_waitcnt vmcnt(0) lgkmcnt(1)
	v_mul_f64 v[131:132], v[12:13], v[66:67]
	v_mul_f64 v[66:67], v[10:11], v[66:67]
	v_fma_f64 v[48:49], v[74:75], v[48:49], -v[50:51]
	v_add_f64 v[50:51], v[30:31], v[4:5]
	v_fma_f64 v[6:7], v[104:105], v[44:45], v[6:7]
	v_add_f64 v[74:75], v[30:31], -v[93:94]
	v_fma_f64 v[14:15], v[14:15], v[68:69], v[118:119]
	v_fma_f64 v[16:17], v[16:17], v[68:69], -v[70:71]
	v_fma_f64 v[22:23], v[22:23], v[32:33], v[114:115]
	v_fma_f64 v[24:25], v[24:25], v[32:33], -v[34:35]
	v_fma_f64 v[32:33], v[106:107], v[44:45], -v[46:47]
	v_add_f64 v[44:45], v[137:138], v[116:117]
	v_add_f64 v[46:47], v[93:94], v[110:111]
	v_fma_f64 v[34:35], v[124:125], v[60:61], v[38:39]
	v_fma_f64 v[38:39], v[126:127], v[60:61], -v[62:63]
	v_fma_f64 v[26:27], v[26:27], v[56:57], v[122:123]
	v_fma_f64 v[28:29], v[28:29], v[56:57], -v[58:59]
	v_add_f64 v[68:69], v[137:138], -v[91:92]
	v_add_f64 v[70:71], v[116:117], -v[108:109]
	v_fma_f64 v[18:19], v[18:19], v[52:53], v[42:43]
	v_fma_f64 v[20:21], v[20:21], v[52:53], -v[54:55]
	v_add_f64 v[42:43], v[91:92], v[108:109]
	v_fma_f64 v[10:11], v[10:11], v[64:65], v[131:132]
	v_fma_f64 v[12:13], v[12:13], v[64:65], -v[66:67]
	v_add_f64 v[56:57], v[129:130], v[72:73]
	v_add_f64 v[60:61], v[40:41], v[48:49]
	v_add_f64 v[104:105], v[4:5], -v[110:111]
	v_add_f64 v[106:107], v[87:88], -v[95:96]
	v_add_f64 v[58:59], v[120:121], v[14:15]
	v_add_f64 v[62:63], v[36:37], v[16:17]
	v_add_f64 v[114:115], v[22:23], -v[112:113]
	v_add_f64 v[118:119], v[89:90], -v[97:98]
	;; [unrolled: 1-line block ×10, first 2 shown]
	s_waitcnt lgkmcnt(0)
	v_add_f64 v[52:53], v[82:83], v[137:138]
	v_add_f64 v[54:55], v[84:85], v[30:31]
	;; [unrolled: 1-line block ×4, first 2 shown]
	v_fma_f64 v[42:43], v[42:43], -0.5, v[82:83]
	v_fma_f64 v[44:45], v[44:45], -0.5, v[82:83]
	;; [unrolled: 1-line block ×4, first 2 shown]
	v_add_f64 v[82:83], v[34:35], -v[26:27]
	v_add_f64 v[84:85], v[10:11], -v[18:19]
	v_fma_f64 v[56:57], v[56:57], -0.5, v[100:101]
	v_fma_f64 v[58:59], v[58:59], -0.5, v[100:101]
	;; [unrolled: 1-line block ×4, first 2 shown]
	v_add_f64 v[99:100], v[38:39], -v[28:29]
	v_add_f64 v[101:102], v[12:13], -v[20:21]
	v_add_f64 v[68:69], v[68:69], v[70:71]
	v_add_f64 v[70:71], v[129:130], -v[120:121]
	v_add_f64 v[74:75], v[74:75], v[104:105]
	;; [unrolled: 2-line block ×8, first 2 shown]
	v_add_f64 v[149:150], v[20:21], -v[12:13]
	v_add_f64 v[151:152], v[120:121], -v[129:130]
	;; [unrolled: 1-line block ×5, first 2 shown]
	v_add_f64 v[82:83], v[82:83], v[84:85]
	v_add_f64 v[84:85], v[97:98], v[8:9]
	;; [unrolled: 1-line block ×11, first 2 shown]
	v_add_f64 v[93:94], v[93:94], -v[110:111]
	v_add_f64 v[30:31], v[30:31], -v[4:5]
	v_add_f64 v[126:127], v[126:127], v[139:140]
	v_add_f64 v[139:140], v[28:29], v[20:21]
	v_add_f64 v[66:67], v[66:67], v[40:41]
	v_add_f64 v[40:41], v[40:41], -v[48:49]
	v_add_f64 v[143:144], v[143:144], v[149:150]
	v_add_f64 v[149:150], v[38:39], v[12:13]
	;; [unrolled: 1-line block ×6, first 2 shown]
	v_fma_f64 v[84:85], v[84:85], -0.5, v[2:3]
	v_add_f64 v[129:130], v[129:130], -v[72:73]
	v_fma_f64 v[101:102], v[101:102], -0.5, v[2:3]
	v_add_f64 v[2:3], v[2:3], v[89:90]
	v_add_f64 v[52:53], v[52:53], v[108:109]
	v_fma_f64 v[103:104], v[103:104], -0.5, v[6:7]
	v_add_f64 v[137:138], v[137:138], -v[116:117]
	v_add_f64 v[36:37], v[36:37], -v[16:17]
	;; [unrolled: 1-line block ×3, first 2 shown]
	v_fma_f64 v[122:123], v[122:123], -0.5, v[6:7]
	v_add_f64 v[6:7], v[6:7], v[34:35]
	v_add_f64 v[34:35], v[34:35], -v[10:11]
	v_add_f64 v[54:55], v[54:55], v[110:111]
	v_fma_f64 v[139:140], v[139:140], -0.5, v[32:33]
	v_add_f64 v[48:49], v[66:67], v[48:49]
	s_barrier
	v_fma_f64 v[149:150], v[149:150], -0.5, v[32:33]
	v_add_f64 v[32:33], v[32:33], v[38:39]
	v_fma_f64 v[153:154], v[153:154], -0.5, v[135:136]
	v_add_f64 v[38:39], v[38:39], -v[12:13]
	v_fma_f64 v[157:158], v[157:158], -0.5, v[135:136]
	v_add_f64 v[135:136], v[135:136], v[87:88]
	v_add_f64 v[86:87], v[87:88], -v[22:23]
	v_add_f64 v[88:89], v[89:90], -v[24:25]
	v_add_f64 v[2:3], v[2:3], v[97:98]
	v_add_f64 v[90:91], v[91:92], -v[108:109]
	v_add_f64 v[97:98], v[97:98], -v[8:9]
	v_add_f64 v[52:53], v[52:53], v[116:117]
	v_fma_f64 v[66:67], v[137:138], s[6:7], v[46:47]
	v_fma_f64 v[46:47], v[137:138], s[12:13], v[46:47]
	buffer_gl0_inv
	v_add_f64 v[6:7], v[6:7], v[26:27]
	v_add_f64 v[26:27], v[26:27], -v[18:19]
	v_add_f64 v[54:55], v[54:55], v[4:5]
	v_fma_f64 v[116:117], v[34:35], s[6:7], v[139:140]
	v_fma_f64 v[139:140], v[34:35], s[12:13], v[139:140]
	v_add_f64 v[16:17], v[48:49], v[16:17]
	v_add_f64 v[32:33], v[32:33], v[28:29]
	v_add_f64 v[28:29], v[28:29], -v[20:21]
	v_fma_f64 v[4:5], v[38:39], s[12:13], v[103:104]
	v_fma_f64 v[103:104], v[38:39], s[6:7], v[103:104]
	v_add_f64 v[135:136], v[135:136], v[95:96]
	v_add_f64 v[95:96], v[95:96], -v[112:113]
	v_add_f64 v[2:3], v[2:3], v[8:9]
	v_add_f64 v[8:9], v[64:65], v[72:73]
	v_fma_f64 v[72:73], v[93:94], s[6:7], v[44:45]
	v_fma_f64 v[44:45], v[93:94], s[12:13], v[44:45]
	;; [unrolled: 1-line block ×5, first 2 shown]
	v_add_f64 v[6:7], v[6:7], v[18:19]
	v_fma_f64 v[66:67], v[90:91], s[4:5], v[66:67]
	v_fma_f64 v[46:47], v[90:91], s[18:19], v[46:47]
	v_fma_f64 v[50:51], v[90:91], s[6:7], v[50:51]
	v_add_f64 v[18:19], v[32:33], v[20:21]
	v_fma_f64 v[20:21], v[86:87], s[6:7], v[84:85]
	v_fma_f64 v[84:85], v[86:87], s[12:13], v[84:85]
	v_fma_f64 v[32:33], v[88:89], s[12:13], v[153:154]
	;; [unrolled: 4-line block ×4, first 2 shown]
	v_add_f64 v[24:25], v[2:3], v[24:25]
	v_fma_f64 v[2:3], v[120:121], s[6:7], v[60:61]
	v_add_f64 v[159:160], v[6:7], v[10:11]
	v_fma_f64 v[6:7], v[40:41], s[6:7], v[58:59]
	v_fma_f64 v[10:11], v[129:130], s[12:13], v[62:63]
	;; [unrolled: 1-line block ×7, first 2 shown]
	v_add_f64 v[18:19], v[18:19], v[12:13]
	v_fma_f64 v[12:13], v[40:41], s[12:13], v[58:59]
	v_fma_f64 v[58:59], v[129:130], s[6:7], v[62:63]
	v_fma_f64 v[62:63], v[26:27], s[6:7], v[149:150]
	v_fma_f64 v[20:21], v[95:96], s[4:5], v[20:21]
	v_add_f64 v[22:23], v[107:108], v[22:23]
	v_fma_f64 v[107:108], v[36:37], s[12:13], v[56:57]
	v_fma_f64 v[109:110], v[86:87], s[4:5], v[111:112]
	;; [unrolled: 1-line block ×17, first 2 shown]
	v_add_f64 v[4:5], v[54:55], v[24:25]
	v_add_f64 v[8:9], v[54:55], -v[24:25]
	v_fma_f64 v[34:35], v[34:35], s[18:19], v[62:63]
	v_fma_f64 v[20:21], v[118:119], s[10:11], v[20:21]
	v_add_f64 v[6:7], v[52:53], -v[22:23]
	v_fma_f64 v[96:97], v[40:41], s[18:19], v[107:108]
	v_fma_f64 v[107:108], v[129:130], s[4:5], v[2:3]
	v_add_f64 v[2:3], v[52:53], v[22:23]
	v_fma_f64 v[22:23], v[147:148], s[10:11], v[109:110]
	v_fma_f64 v[54:55], v[147:148], s[10:11], v[86:87]
	;; [unrolled: 1-line block ×15, first 2 shown]
	v_add_f64 v[12:13], v[16:17], v[18:19]
	v_fma_f64 v[34:35], v[143:144], s[10:11], v[34:35]
	v_add_f64 v[16:17], v[16:17], -v[18:19]
	v_fma_f64 v[18:19], v[105:106], s[10:11], v[32:33]
	v_fma_f64 v[32:33], v[74:75], s[10:11], v[66:67]
	;; [unrolled: 1-line block ×3, first 2 shown]
	v_mul_f64 v[46:47], v[20:21], s[18:19]
	v_mul_f64 v[20:21], v[20:21], s[20:21]
	v_fma_f64 v[52:53], v[141:142], s[10:11], v[101:102]
	v_fma_f64 v[66:67], v[141:142], s[10:11], v[88:89]
	v_mul_f64 v[88:89], v[22:23], s[12:13]
	v_mul_f64 v[22:23], v[22:23], s[10:11]
	v_fma_f64 v[50:51], v[137:138], s[18:19], v[50:51]
	v_fma_f64 v[58:59], v[120:121], s[18:19], v[58:59]
	;; [unrolled: 4-line block ×3, first 2 shown]
	v_fma_f64 v[84:85], v[82:83], s[10:11], v[94:95]
	v_fma_f64 v[28:29], v[82:83], s[10:11], v[28:29]
	v_mul_f64 v[82:83], v[30:31], s[18:19]
	v_mul_f64 v[30:31], v[30:31], s[14:15]
	;; [unrolled: 1-line block ×4, first 2 shown]
	v_fma_f64 v[135:136], v[120:121], s[4:5], v[10:11]
	v_fma_f64 v[86:87], v[151:152], s[10:11], v[96:97]
	;; [unrolled: 1-line block ×3, first 2 shown]
	v_mul_f64 v[96:97], v[72:73], s[12:13]
	v_mul_f64 v[72:73], v[72:73], s[10:11]
	v_fma_f64 v[38:39], v[126:127], s[10:11], v[38:39]
	v_mul_f64 v[98:99], v[34:35], s[12:13]
	v_mul_f64 v[34:35], v[34:35], s[16:17]
	;; [unrolled: 1-line block ×4, first 2 shown]
	v_fma_f64 v[46:47], v[18:19], s[20:21], v[46:47]
	v_fma_f64 v[102:103], v[18:19], s[4:5], v[20:21]
	v_fma_f64 v[44:45], v[131:132], s[10:11], v[44:45]
	v_fma_f64 v[88:89], v[52:53], s[10:11], v[88:89]
	v_fma_f64 v[52:53], v[52:53], s[6:7], v[22:23]
	v_fma_f64 v[50:51], v[131:132], s[10:11], v[50:51]
	v_fma_f64 v[110:111], v[114:115], s[10:11], v[58:59]
	v_fma_f64 v[58:59], v[66:67], s[16:17], v[92:93]
	v_fma_f64 v[54:55], v[66:67], s[6:7], v[54:55]
	v_fma_f64 v[112:113], v[155:156], s[10:11], v[56:57]
	v_fma_f64 v[56:57], v[42:43], s[14:15], v[82:83]
	v_fma_f64 v[66:67], v[42:43], s[4:5], v[30:31]
	v_fma_f64 v[90:91], v[155:156], s[10:11], v[107:108]
	v_fma_f64 v[104:105], v[70:71], s[10:11], v[116:117]
	v_fma_f64 v[108:109], v[70:71], s[10:11], v[36:37]
	v_fma_f64 v[70:71], v[84:85], s[20:21], v[94:95]
	v_fma_f64 v[64:65], v[84:85], s[4:5], v[64:65]
	v_fma_f64 v[106:107], v[114:115], s[10:11], v[135:136]
	v_fma_f64 v[82:83], v[48:49], s[10:11], v[96:97]
	v_fma_f64 v[84:85], v[48:49], s[6:7], v[72:73]
	v_fma_f64 v[94:95], v[38:39], s[16:17], v[98:99]
	v_fma_f64 v[96:97], v[38:39], s[6:7], v[34:35]
	v_fma_f64 v[92:93], v[151:152], s[10:11], v[40:41]
	v_fma_f64 v[98:99], v[28:29], s[14:15], v[100:101]
	v_fma_f64 v[100:101], v[28:29], s[4:5], v[26:27]
	v_add_f64 v[18:19], v[24:25], v[46:47]
	v_add_f64 v[20:21], v[32:33], v[102:103]
	;; [unrolled: 1-line block ×6, first 2 shown]
	v_add_f64 v[22:23], v[24:25], -v[46:47]
	v_add_f64 v[24:25], v[32:33], -v[102:103]
	;; [unrolled: 1-line block ×3, first 2 shown]
	v_add_f64 v[42:43], v[68:69], v[56:57]
	v_add_f64 v[44:45], v[74:75], v[66:67]
	v_add_f64 v[30:31], v[60:61], -v[88:89]
	v_add_f64 v[38:39], v[62:63], -v[58:59]
	;; [unrolled: 1-line block ×5, first 2 shown]
	v_add_f64 v[10:11], v[14:15], v[159:160]
	v_add_f64 v[50:51], v[86:87], v[70:71]
	;; [unrolled: 1-line block ×7, first 2 shown]
	v_add_f64 v[54:55], v[86:87], -v[70:71]
	v_add_f64 v[70:71], v[92:93], v[98:99]
	v_add_f64 v[72:73], v[112:113], v[100:101]
	v_add_f64 v[14:15], v[14:15], -v[159:160]
	v_add_f64 v[56:57], v[90:91], -v[64:65]
	;; [unrolled: 1-line block ×8, first 2 shown]
	ds_write_b128 v145, v[2:5]
	ds_write_b128 v145, v[6:9] offset:800
	ds_write_b128 v145, v[18:21] offset:160
	;; [unrolled: 1-line block ×9, first 2 shown]
	ds_write_b128 v161, v[10:13]
	ds_write_b128 v161, v[50:53] offset:160
	ds_write_b128 v161, v[58:61] offset:320
	;; [unrolled: 1-line block ×9, first 2 shown]
	s_waitcnt lgkmcnt(0)
	s_barrier
	buffer_gl0_inv
	s_clause 0x3
	global_load_dwordx4 v[36:39], v[0:1], off offset:1440
	global_load_dwordx4 v[56:59], v[0:1], off offset:1456
	;; [unrolled: 1-line block ×4, first 2 shown]
	v_mov_b32_e32 v2, 0x147b
	v_lshrrev_b16 v3, 2, v80
	s_clause 0x3
	global_load_dwordx4 v[84:87], v[0:1], off offset:1504
	global_load_dwordx4 v[92:95], v[0:1], off offset:1520
	global_load_dwordx4 v[108:111], v[0:1], off offset:1536
	global_load_dwordx4 v[112:115], v[0:1], off offset:1552
	v_mul_u32_u24_sdwa v2, v3, v2 dst_sel:DWORD dst_unused:UNUSED_PAD src0_sel:WORD_0 src1_sel:DWORD
	v_lshrrev_b32_e32 v135, 17, v2
	v_mul_lo_u16 v2, 0x64, v135
	v_sub_nc_u16 v80, v80, v2
	v_mul_u32_u24_sdwa v2, v80, v128 dst_sel:DWORD dst_unused:UNUSED_PAD src0_sel:WORD_0 src1_sel:DWORD
	v_lshlrev_b32_sdwa v80, v134, v80 dst_sel:DWORD dst_unused:UNUSED_PAD src0_sel:DWORD src1_sel:WORD_0
	v_lshlrev_b32_e32 v24, 4, v2
	s_clause 0x9
	global_load_dwordx4 v[120:123], v24, s[8:9] offset:1456
	global_load_dwordx4 v[136:139], v24, s[8:9] offset:1488
	global_load_dwordx4 v[4:7], v[0:1], off offset:1568
	global_load_dwordx4 v[0:3], v24, s[8:9] offset:1440
	global_load_dwordx4 v[8:11], v24, s[8:9] offset:1520
	;; [unrolled: 1-line block ×7, first 2 shown]
	ds_read_b128 v[48:51], v146 offset:6400
	ds_read_b128 v[60:63], v146 offset:12800
	;; [unrolled: 1-line block ×13, first 2 shown]
	s_waitcnt vmcnt(17) lgkmcnt(12)
	v_mul_f64 v[52:53], v[50:51], v[38:39]
	v_mul_f64 v[38:39], v[48:49], v[38:39]
	s_waitcnt vmcnt(16) lgkmcnt(11)
	v_mul_f64 v[72:73], v[62:63], v[58:59]
	v_mul_f64 v[58:59], v[60:61], v[58:59]
	;; [unrolled: 3-line block ×3, first 2 shown]
	v_mul_f64 v[82:83], v[90:91], v[66:67]
	v_mul_f64 v[66:67], v[88:89], v[66:67]
	s_waitcnt vmcnt(13) lgkmcnt(8)
	v_mul_f64 v[106:107], v[118:119], v[86:87]
	v_mul_f64 v[132:133], v[116:117], v[86:87]
	s_waitcnt vmcnt(11) lgkmcnt(4)
	;; [unrolled: 3-line block ×3, first 2 shown]
	v_mul_f64 v[155:156], v[149:150], v[114:115]
	v_mul_f64 v[114:115], v[147:148], v[114:115]
	v_fma_f64 v[104:105], v[48:49], v[36:37], v[52:53]
	v_fma_f64 v[98:99], v[50:51], v[36:37], -v[38:39]
	v_mul_f64 v[36:37], v[126:127], v[94:95]
	v_mul_f64 v[38:39], v[124:125], v[94:95]
	ds_read_b128 v[52:55], v146 offset:41600
	ds_read_b128 v[48:51], v146 offset:35200
	v_fma_f64 v[72:73], v[60:61], v[56:57], v[72:73]
	v_fma_f64 v[74:75], v[62:63], v[56:57], -v[58:59]
	ds_read_b128 v[60:63], v146 offset:57600
	ds_read_b128 v[56:59], v146 offset:48000
	v_fma_f64 v[100:101], v[100:101], v[68:69], v[96:97]
	v_fma_f64 v[94:95], v[102:103], v[68:69], -v[70:71]
	ds_read_b128 v[68:71], v146 offset:54400
	v_fma_f64 v[86:87], v[88:89], v[64:65], v[82:83]
	v_fma_f64 v[82:83], v[90:91], v[64:65], -v[66:67]
	s_waitcnt vmcnt(9)
	v_mul_f64 v[157:158], v[142:143], v[122:123]
	v_fma_f64 v[90:91], v[116:117], v[84:85], v[106:107]
	v_fma_f64 v[88:89], v[118:119], v[84:85], -v[132:133]
	v_mul_f64 v[122:123], v[140:141], v[122:123]
	s_waitcnt vmcnt(8) lgkmcnt(5)
	v_mul_f64 v[132:133], v[153:154], v[138:139]
	v_mul_f64 v[138:139], v[151:152], v[138:139]
	v_fma_f64 v[84:85], v[130:131], v[108:109], -v[110:111]
	s_waitcnt vmcnt(6)
	v_mul_f64 v[110:111], v[42:43], v[2:3]
	s_waitcnt vmcnt(5) lgkmcnt(4)
	v_mul_f64 v[118:119], v[54:55], v[10:11]
	v_fma_f64 v[102:103], v[124:125], v[92:93], v[36:37]
	v_fma_f64 v[96:97], v[126:127], v[92:93], -v[38:39]
	v_fma_f64 v[92:93], v[128:129], v[108:109], v[144:145]
	s_waitcnt lgkmcnt(2)
	v_mul_f64 v[106:107], v[62:63], v[6:7]
	v_mul_f64 v[116:117], v[52:53], v[10:11]
	ds_read_b128 v[64:67], v146 offset:60800
	ds_read_b128 v[36:39], v146
	v_mul_f64 v[108:109], v[60:61], v[6:7]
	s_waitcnt vmcnt(4) lgkmcnt(2)
	v_mul_f64 v[128:129], v[70:71], v[30:31]
	v_mul_f64 v[130:131], v[68:69], v[30:31]
	v_fma_f64 v[10:11], v[147:148], v[112:113], v[155:156]
	v_fma_f64 v[6:7], v[149:150], v[112:113], -v[114:115]
	v_mul_f64 v[112:113], v[40:41], v[2:3]
	s_waitcnt vmcnt(3)
	v_mul_f64 v[114:115], v[46:47], v[22:23]
	v_fma_f64 v[2:3], v[140:141], v[120:121], v[157:158]
	s_waitcnt vmcnt(2)
	v_mul_f64 v[124:125], v[48:49], v[18:19]
	v_fma_f64 v[30:31], v[142:143], v[120:121], -v[122:123]
	v_mul_f64 v[120:121], v[44:45], v[22:23]
	v_mul_f64 v[122:123], v[50:51], v[18:19]
	s_waitcnt vmcnt(1)
	v_mul_f64 v[126:127], v[58:59], v[14:15]
	v_fma_f64 v[18:19], v[151:152], v[136:137], v[132:133]
	v_fma_f64 v[22:23], v[153:154], v[136:137], -v[138:139]
	v_mul_f64 v[14:15], v[56:57], v[14:15]
	v_fma_f64 v[52:53], v[52:53], v[8:9], v[118:119]
	v_fma_f64 v[40:41], v[40:41], v[0:1], v[110:111]
	s_waitcnt vmcnt(0) lgkmcnt(1)
	v_mul_f64 v[132:133], v[66:67], v[26:27]
	v_mul_f64 v[26:27], v[64:65], v[26:27]
	v_fma_f64 v[8:9], v[54:55], v[8:9], -v[116:117]
	v_fma_f64 v[54:55], v[60:61], v[4:5], v[106:107]
	v_fma_f64 v[4:5], v[62:63], v[4:5], -v[108:109]
	v_fma_f64 v[68:69], v[68:69], v[28:29], v[128:129]
	v_fma_f64 v[28:29], v[70:71], v[28:29], -v[130:131]
	v_add_f64 v[110:111], v[72:73], -v[100:101]
	v_add_f64 v[116:117], v[6:7], -v[96:97]
	v_fma_f64 v[0:1], v[42:43], v[0:1], -v[112:113]
	v_fma_f64 v[42:43], v[44:45], v[20:21], v[114:115]
	v_add_f64 v[112:113], v[10:11], -v[102:103]
	v_add_f64 v[114:115], v[74:75], -v[94:95]
	v_add_f64 v[118:119], v[86:87], -v[90:91]
	v_fma_f64 v[20:21], v[46:47], v[20:21], -v[120:121]
	v_fma_f64 v[44:45], v[48:49], v[16:17], v[122:123]
	v_fma_f64 v[46:47], v[56:57], v[12:13], v[126:127]
	v_fma_f64 v[16:17], v[50:51], v[16:17], -v[124:125]
	v_add_f64 v[48:49], v[72:73], v[10:11]
	v_fma_f64 v[12:13], v[58:59], v[12:13], -v[14:15]
	v_add_f64 v[62:63], v[18:19], v[52:53]
	v_add_f64 v[50:51], v[94:95], v[96:97]
	v_fma_f64 v[14:15], v[64:65], v[24:25], v[132:133]
	v_fma_f64 v[24:25], v[66:67], v[24:25], -v[26:27]
	v_add_f64 v[66:67], v[22:23], v[8:9]
	v_add_f64 v[120:121], v[54:55], -v[92:93]
	v_add_f64 v[26:27], v[100:101], v[102:103]
	v_add_f64 v[64:65], v[2:3], v[68:69]
	;; [unrolled: 1-line block ×4, first 2 shown]
	v_add_f64 v[140:141], v[88:89], -v[82:83]
	v_add_f64 v[142:143], v[84:85], -v[4:5]
	;; [unrolled: 1-line block ×4, first 2 shown]
	v_add_f64 v[106:107], v[32:33], v[2:3]
	v_add_f64 v[108:109], v[34:35], v[30:31]
	v_add_f64 v[149:150], v[30:31], -v[22:23]
	v_add_f64 v[151:152], v[28:29], -v[8:9]
	v_add_f64 v[110:111], v[110:111], v[112:113]
	v_add_f64 v[112:113], v[52:53], -v[68:69]
	v_add_f64 v[114:115], v[114:115], v[116:117]
	v_add_f64 v[116:117], v[22:23], -v[30:31]
	v_fma_f64 v[62:63], v[62:63], -0.5, v[32:33]
	s_waitcnt lgkmcnt(0)
	v_add_f64 v[58:59], v[36:37], v[72:73]
	v_add_f64 v[60:61], v[38:39], v[74:75]
	v_add_f64 v[122:123], v[82:83], -v[88:89]
	v_add_f64 v[124:125], v[4:5], -v[84:85]
	v_add_f64 v[118:119], v[118:119], v[120:121]
	v_add_f64 v[120:121], v[8:9], -v[28:29]
	v_fma_f64 v[32:33], v[64:65], -0.5, v[32:33]
	v_fma_f64 v[64:65], v[66:67], -0.5, v[34:35]
	;; [unrolled: 1-line block ×3, first 2 shown]
	v_add_f64 v[70:71], v[18:19], -v[2:3]
	v_add_f64 v[126:127], v[100:101], -v[72:73]
	;; [unrolled: 1-line block ×3, first 2 shown]
	v_fma_f64 v[26:27], v[26:27], -0.5, v[36:37]
	v_fma_f64 v[36:37], v[48:49], -0.5, v[36:37]
	;; [unrolled: 1-line block ×4, first 2 shown]
	v_add_f64 v[56:57], v[20:21], -v[16:17]
	v_add_f64 v[66:67], v[24:25], -v[12:13]
	v_mul_u32_u24_e32 v157, 0x3e80, v135
	v_add_f64 v[134:135], v[140:141], v[142:143]
	v_add_f64 v[140:141], v[16:17], -v[20:21]
	v_add_f64 v[142:143], v[144:145], v[147:148]
	v_add_f64 v[144:145], v[12:13], -v[24:25]
	v_add_f64 v[130:131], v[94:95], -v[74:75]
	;; [unrolled: 1-line block ×5, first 2 shown]
	v_add_f64 v[147:148], v[149:150], v[151:152]
	v_add_f64 v[149:150], v[88:89], v[84:85]
	;; [unrolled: 1-line block ×15, first 2 shown]
	v_add_f64 v[100:101], v[100:101], -v[102:103]
	v_add_f64 v[94:95], v[94:95], -v[96:97]
	v_add_f64 v[140:141], v[140:141], v[144:145]
	v_add_f64 v[144:145], v[98:99], v[82:83]
	;; [unrolled: 1-line block ×3, first 2 shown]
	v_add_f64 v[132:133], v[44:45], -v[42:43]
	v_add_f64 v[136:137], v[136:137], v[138:139]
	v_add_f64 v[138:139], v[46:47], -v[14:15]
	v_fma_f64 v[149:150], v[149:150], -0.5, v[98:99]
	v_fma_f64 v[98:99], v[151:152], -0.5, v[98:99]
	v_add_f64 v[151:152], v[40:41], v[42:43]
	v_add_f64 v[108:109], v[108:109], v[22:23]
	v_fma_f64 v[112:113], v[112:113], -0.5, v[40:41]
	v_fma_f64 v[40:41], v[120:121], -0.5, v[40:41]
	v_add_f64 v[120:121], v[0:1], v[20:21]
	v_fma_f64 v[124:125], v[124:125], -0.5, v[104:105]
	v_add_f64 v[86:87], v[86:87], -v[54:55]
	v_fma_f64 v[104:105], v[128:129], -0.5, v[104:105]
	v_add_f64 v[128:129], v[16:17], v[12:13]
	v_add_f64 v[106:107], v[106:107], v[18:19]
	;; [unrolled: 1-line block ×3, first 2 shown]
	v_add_f64 v[90:91], v[90:91], -v[92:93]
	v_add_f64 v[58:59], v[58:59], v[102:103]
	v_add_f64 v[82:83], v[82:83], -v[4:5]
	v_add_f64 v[153:154], v[42:43], -v[44:45]
	v_add_f64 v[144:145], v[144:145], v[88:89]
	v_add_f64 v[88:89], v[88:89], -v[84:85]
	v_add_f64 v[60:61], v[60:61], v[96:97]
	;; [unrolled: 2-line block ×3, first 2 shown]
	v_add_f64 v[138:139], v[20:21], v[24:25]
	v_add_f64 v[72:73], v[72:73], -v[10:11]
	v_add_f64 v[151:152], v[151:152], v[44:45]
	v_add_f64 v[42:43], v[42:43], -v[14:15]
	v_add_f64 v[44:45], v[44:45], -v[46:47]
	;; [unrolled: 1-line block ×3, first 2 shown]
	v_add_f64 v[120:121], v[120:121], v[16:17]
	v_add_f64 v[16:17], v[16:17], -v[12:13]
	v_add_f64 v[22:23], v[22:23], -v[8:9]
	v_add_f64 v[8:9], v[108:109], v[8:9]
	v_fma_f64 v[128:129], v[128:129], -0.5, v[0:1]
	v_fma_f64 v[108:109], v[94:95], s[6:7], v[36:37]
	v_add_f64 v[66:67], v[66:67], v[92:93]
	v_fma_f64 v[36:37], v[94:95], s[12:13], v[36:37]
	v_add_f64 v[50:51], v[14:15], -v[46:47]
	v_add_f64 v[52:53], v[106:107], v[52:53]
	v_fma_f64 v[106:107], v[86:87], s[6:7], v[149:150]
	v_add_f64 v[84:85], v[144:145], v[84:85]
	v_fma_f64 v[144:145], v[90:91], s[12:13], v[98:99]
	v_fma_f64 v[98:99], v[90:91], s[6:7], v[98:99]
	v_add_f64 v[30:31], v[30:31], -v[28:29]
	v_add_f64 v[2:3], v[2:3], -v[68:69]
	v_fma_f64 v[0:1], v[138:139], -0.5, v[0:1]
	v_add_f64 v[10:11], v[58:59], v[10:11]
	v_add_f64 v[46:47], v[151:152], v[46:47]
	v_fma_f64 v[151:152], v[88:89], s[6:7], v[104:105]
	v_fma_f64 v[104:105], v[88:89], s[12:13], v[104:105]
	;; [unrolled: 1-line block ×3, first 2 shown]
	v_add_f64 v[12:13], v[120:121], v[12:13]
	v_fma_f64 v[120:121], v[100:101], s[12:13], v[38:39]
	v_fma_f64 v[38:39], v[100:101], s[6:7], v[38:39]
	v_add_f64 v[20:21], v[20:21], -v[24:25]
	v_fma_f64 v[149:150], v[86:87], s[12:13], v[149:150]
	v_add_f64 v[6:7], v[60:61], v[6:7]
	v_fma_f64 v[60:61], v[74:75], s[12:13], v[26:27]
	v_fma_f64 v[26:27], v[74:75], s[6:7], v[26:27]
	v_add_f64 v[54:55], v[66:67], v[54:55]
	v_fma_f64 v[66:67], v[72:73], s[6:7], v[48:49]
	;; [unrolled: 3-line block ×3, first 2 shown]
	v_fma_f64 v[144:145], v[86:87], s[4:5], v[144:145]
	v_fma_f64 v[86:87], v[86:87], s[18:19], v[98:99]
	;; [unrolled: 1-line block ×9, first 2 shown]
	v_add_f64 v[24:25], v[12:13], v[24:25]
	v_fma_f64 v[12:13], v[44:45], s[12:13], v[0:1]
	v_fma_f64 v[120:121], v[72:73], s[4:5], v[120:121]
	;; [unrolled: 1-line block ×10, first 2 shown]
	v_add_f64 v[52:53], v[52:53], v[68:69]
	v_add_f64 v[28:29], v[8:9], v[28:29]
	v_fma_f64 v[8:9], v[30:31], s[12:13], v[62:63]
	v_add_f64 v[14:15], v[46:47], v[14:15]
	v_fma_f64 v[46:47], v[2:3], s[6:7], v[64:65]
	v_fma_f64 v[58:59], v[88:89], s[18:19], v[58:59]
	;; [unrolled: 1-line block ×22, first 2 shown]
	v_add_f64 v[0:1], v[10:11], v[54:55]
	v_add_f64 v[4:5], v[10:11], -v[54:55]
	v_add_f64 v[8:9], v[52:53], v[14:15]
	v_add_f64 v[10:11], v[28:29], v[24:25]
	v_add_f64 v[12:13], v[52:53], -v[14:15]
	v_add_f64 v[14:15], v[28:29], -v[24:25]
	v_fma_f64 v[28:29], v[134:135], s[10:11], v[144:145]
	v_fma_f64 v[46:47], v[18:19], s[4:5], v[46:47]
	;; [unrolled: 1-line block ×4, first 2 shown]
	v_add_f64 v[50:51], v[153:154], v[50:51]
	v_fma_f64 v[88:89], v[88:89], s[4:5], v[124:125]
	v_fma_f64 v[68:69], v[16:17], s[18:19], v[68:69]
	;; [unrolled: 1-line block ×8, first 2 shown]
	v_add_f64 v[2:3], v[6:7], v[84:85]
	v_add_f64 v[6:7], v[6:7], -v[84:85]
	v_fma_f64 v[84:85], v[140:141], s[10:11], v[106:107]
	v_fma_f64 v[86:87], v[110:111], s[10:11], v[26:27]
	;; [unrolled: 1-line block ×4, first 2 shown]
	v_mul_f64 v[56:57], v[42:43], s[18:19]
	v_mul_f64 v[42:43], v[42:43], s[20:21]
	v_fma_f64 v[54:55], v[136:137], s[10:11], v[151:152]
	v_mul_f64 v[90:91], v[28:29], s[12:13]
	v_mul_f64 v[28:29], v[28:29], s[10:11]
	v_fma_f64 v[82:83], v[136:137], s[10:11], v[82:83]
	v_fma_f64 v[94:95], v[147:148], s[10:11], v[46:47]
	;; [unrolled: 1-line block ×3, first 2 shown]
	v_mul_f64 v[74:75], v[58:59], s[12:13]
	v_mul_f64 v[58:59], v[58:59], s[16:17]
	v_fma_f64 v[40:41], v[118:119], s[10:11], v[88:89]
	v_fma_f64 v[68:69], v[50:51], s[10:11], v[68:69]
	;; [unrolled: 1-line block ×3, first 2 shown]
	v_mul_f64 v[50:51], v[64:65], s[18:19]
	v_mul_f64 v[64:65], v[64:65], s[14:15]
	v_fma_f64 v[88:89], v[142:143], s[10:11], v[100:101]
	v_mul_f64 v[100:101], v[66:67], s[18:19]
	v_mul_f64 v[66:67], v[66:67], s[20:21]
	;; [unrolled: 1-line block ×4, first 2 shown]
	v_fma_f64 v[20:21], v[132:133], s[10:11], v[20:21]
	v_mul_f64 v[106:107], v[26:27], s[12:13]
	v_mul_f64 v[26:27], v[26:27], s[16:17]
	v_fma_f64 v[22:23], v[22:23], s[4:5], v[62:63]
	v_fma_f64 v[44:45], v[110:111], s[10:11], v[60:61]
	;; [unrolled: 1-line block ×3, first 2 shown]
	v_mul_f64 v[108:109], v[34:35], s[18:19]
	v_mul_f64 v[34:35], v[34:35], s[14:15]
	v_fma_f64 v[56:57], v[24:25], s[20:21], v[56:57]
	v_fma_f64 v[24:25], v[24:25], s[4:5], v[42:43]
	;; [unrolled: 1-line block ×26, first 2 shown]
	v_mul_u32_u24_e32 v155, 3, v76
	v_add_f64 v[16:17], v[44:45], v[56:57]
	v_add_f64 v[18:19], v[52:53], v[24:25]
	v_add_f64 v[22:23], v[52:53], -v[24:25]
	v_add_f64 v[24:25], v[60:61], v[42:43]
	v_lshlrev_b32_e32 v155, 4, v155
	v_add_f64 v[26:27], v[62:63], v[54:55]
	v_add_f64 v[32:33], v[36:37], v[70:71]
	;; [unrolled: 1-line block ×3, first 2 shown]
	v_cndmask_b32_e64 v156, 0, 0x3e80, s0
	v_add_co_u32 v154, s0, s8, v155
	v_add_f64 v[28:29], v[60:61], -v[42:43]
	v_add_f64 v[40:41], v[86:87], v[50:51]
	v_add_f64 v[42:43], v[48:49], v[64:65]
	v_add_f64 v[20:21], v[44:45], -v[56:57]
	v_add_nc_u32_e32 v153, 0x9600, v155
	v_add_co_ci_u32_e64 v155, null, s9, 0, s0
	v_add_f64 v[30:31], v[62:63], -v[54:55]
	v_add_f64 v[36:37], v[36:37], -v[70:71]
	;; [unrolled: 1-line block ×5, first 2 shown]
	v_add_co_u32 v138, s0, 0x3800, v154
	v_add_f64 v[48:49], v[88:89], v[74:75]
	v_add_f64 v[50:51], v[94:95], v[66:67]
	v_add_co_ci_u32_e64 v139, s0, 0, v155, s0
	v_add_f64 v[56:57], v[72:73], v[68:69]
	v_add_f64 v[58:59], v[98:99], v[84:85]
	v_add_co_u32 v102, s0, 0x3de0, v154
	v_add_f64 v[54:55], v[94:95], -v[66:67]
	v_add_f64 v[64:65], v[90:91], v[100:101]
	v_add_f64 v[66:67], v[110:111], v[104:105]
	v_add_f64 v[60:61], v[72:73], -v[68:69]
	v_add_f64 v[68:69], v[82:83], v[106:107]
	v_add_f64 v[70:71], v[112:113], v[108:109]
	v_add_co_ci_u32_e64 v103, s0, 0, v155, s0
	v_add_co_u32 v96, s0, 0x6000, v154
	v_add_f64 v[52:53], v[88:89], -v[74:75]
	v_add3_u32 v77, 0, v156, v77
	v_add_f64 v[62:63], v[98:99], -v[84:85]
	v_add_co_ci_u32_e64 v97, s0, 0, v155, s0
	v_add_f64 v[72:73], v[90:91], -v[100:101]
	v_add_f64 v[74:75], v[110:111], -v[104:105]
	v_add_co_u32 v92, s0, 0x6360, v154
	v_add_f64 v[82:83], v[82:83], -v[106:107]
	v_add_f64 v[84:85], v[112:113], -v[108:109]
	v_add_co_ci_u32_e64 v93, s0, 0, v155, s0
	v_add3_u32 v80, 0, v157, v80
	s_barrier
	buffer_gl0_inv
	ds_write_b128 v77, v[0:3]
	ds_write_b128 v77, v[4:7] offset:8000
	ds_write_b128 v77, v[16:19] offset:1600
	ds_write_b128 v77, v[24:27] offset:3200
	ds_write_b128 v77, v[32:35] offset:4800
	ds_write_b128 v77, v[40:43] offset:6400
	ds_write_b128 v77, v[20:23] offset:9600
	ds_write_b128 v77, v[28:31] offset:11200
	ds_write_b128 v77, v[36:39] offset:12800
	ds_write_b128 v77, v[44:47] offset:14400
	ds_write_b128 v80, v[8:11]
	ds_write_b128 v80, v[48:51] offset:1600
	ds_write_b128 v80, v[56:59] offset:3200
	;; [unrolled: 1-line block ×9, first 2 shown]
	s_waitcnt lgkmcnt(0)
	s_barrier
	buffer_gl0_inv
	s_clause 0x1
	global_load_dwordx4 v[0:3], v[138:139], off offset:1504
	global_load_dwordx4 v[4:7], v[102:103], off offset:16
	v_add_co_u32 v24, s0, 0x8800, v154
	v_add_co_ci_u32_e64 v25, s0, 0, v155, s0
	v_add_co_u32 v48, s0, 0xae60, v154
	s_clause 0x1
	global_load_dwordx4 v[8:11], v[102:103], off offset:32
	global_load_dwordx4 v[12:15], v[96:97], off offset:864
	v_add_co_ci_u32_e64 v49, s0, 0, v155, s0
	v_add_co_u32 v32, s0, 0x88e0, v154
	s_clause 0x2
	global_load_dwordx4 v[16:19], v[92:93], off offset:16
	global_load_dwordx4 v[20:23], v[92:93], off offset:32
	;; [unrolled: 1-line block ×3, first 2 shown]
	v_add_co_ci_u32_e64 v33, s0, 0, v155, s0
	v_add_co_u32 v36, s0, 0xa800, v154
	v_add_co_ci_u32_e64 v37, s0, 0, v155, s0
	v_add_co_u32 v50, s0, s8, v153
	v_add_co_ci_u32_e64 v51, null, s9, 0, s0
	s_clause 0x1
	global_load_dwordx4 v[28:31], v[32:33], off offset:16
	global_load_dwordx4 v[32:35], v[32:33], off offset:32
	v_add_co_u32 v56, s0, 0x3de0, v50
	v_add_co_ci_u32_e64 v57, s0, 0, v51, s0
	v_add_co_u32 v52, s0, 0x3800, v50
	v_add_co_ci_u32_e64 v53, s0, 0, v51, s0
	s_clause 0x5
	global_load_dwordx4 v[36:39], v[36:37], off offset:1632
	global_load_dwordx4 v[40:43], v[48:49], off offset:16
	;; [unrolled: 1-line block ×6, first 2 shown]
	ds_read_b128 v[60:63], v146 offset:16000
	ds_read_b128 v[64:67], v146 offset:32000
	;; [unrolled: 1-line block ×15, first 2 shown]
	ds_read_b128 v[126:129], v146
	s_waitcnt vmcnt(14) lgkmcnt(15)
	v_mul_f64 v[130:131], v[62:63], v[2:3]
	s_waitcnt vmcnt(13) lgkmcnt(14)
	v_mul_f64 v[132:133], v[66:67], v[6:7]
	v_mul_f64 v[2:3], v[60:61], v[2:3]
	;; [unrolled: 1-line block ×3, first 2 shown]
	s_waitcnt vmcnt(12) lgkmcnt(13)
	v_mul_f64 v[134:135], v[70:71], v[10:11]
	s_waitcnt vmcnt(11) lgkmcnt(12)
	v_mul_f64 v[136:137], v[74:75], v[14:15]
	v_mul_f64 v[10:11], v[68:69], v[10:11]
	;; [unrolled: 1-line block ×3, first 2 shown]
	s_waitcnt vmcnt(10) lgkmcnt(11)
	v_mul_f64 v[138:139], v[84:85], v[18:19]
	v_mul_f64 v[18:19], v[82:83], v[18:19]
	s_waitcnt vmcnt(9) lgkmcnt(10)
	v_mul_f64 v[140:141], v[88:89], v[22:23]
	v_mul_f64 v[22:23], v[86:87], v[22:23]
	;; [unrolled: 3-line block ×3, first 2 shown]
	v_fma_f64 v[60:61], v[60:61], v[0:1], v[130:131]
	s_waitcnt vmcnt(7) lgkmcnt(7)
	v_mul_f64 v[130:131], v[100:101], v[30:31]
	v_mul_f64 v[30:31], v[98:99], v[30:31]
	s_waitcnt vmcnt(6) lgkmcnt(5)
	v_mul_f64 v[144:145], v[108:109], v[34:35]
	v_mul_f64 v[34:35], v[106:107], v[34:35]
	v_fma_f64 v[64:65], v[64:65], v[4:5], v[132:133]
	v_fma_f64 v[62:63], v[62:63], v[0:1], -v[2:3]
	v_fma_f64 v[68:69], v[68:69], v[8:9], v[134:135]
	v_fma_f64 v[72:73], v[72:73], v[12:13], v[136:137]
	s_waitcnt vmcnt(5)
	v_mul_f64 v[132:133], v[104:105], v[38:39]
	s_waitcnt vmcnt(4) lgkmcnt(3)
	v_mul_f64 v[147:148], v[116:117], v[42:43]
	v_mul_f64 v[42:43], v[114:115], v[42:43]
	s_waitcnt vmcnt(3) lgkmcnt(2)
	v_mul_f64 v[134:135], v[120:121], v[46:47]
	v_mul_f64 v[46:47], v[118:119], v[46:47]
	;; [unrolled: 1-line block ×3, first 2 shown]
	s_waitcnt vmcnt(2)
	v_mul_f64 v[149:150], v[112:113], v[50:51]
	v_mul_f64 v[50:51], v[110:111], v[50:51]
	s_waitcnt vmcnt(1)
	v_mul_f64 v[136:137], v[96:97], v[54:55]
	v_mul_f64 v[54:55], v[94:95], v[54:55]
	s_waitcnt vmcnt(0) lgkmcnt(1)
	v_mul_f64 v[151:152], v[124:125], v[58:59]
	v_fma_f64 v[82:83], v[82:83], v[16:17], v[138:139]
	v_fma_f64 v[16:17], v[84:85], v[16:17], -v[18:19]
	v_mul_f64 v[18:19], v[122:123], v[58:59]
	v_fma_f64 v[66:67], v[66:67], v[4:5], -v[6:7]
	v_fma_f64 v[70:71], v[70:71], v[8:9], -v[10:11]
	v_fma_f64 v[58:59], v[86:87], v[20:21], v[140:141]
	v_fma_f64 v[20:21], v[88:89], v[20:21], -v[22:23]
	v_fma_f64 v[22:23], v[90:91], v[24:25], v[142:143]
	v_fma_f64 v[24:25], v[92:93], v[24:25], -v[26:27]
	v_fma_f64 v[26:27], v[98:99], v[28:29], v[130:131]
	v_fma_f64 v[74:75], v[74:75], v[12:13], -v[14:15]
	v_fma_f64 v[28:29], v[100:101], v[28:29], -v[30:31]
	ds_read_b128 v[0:3], v146 offset:3200
	ds_read_b128 v[4:7], v146 offset:6400
	v_fma_f64 v[30:31], v[114:115], v[40:41], v[147:148]
	v_fma_f64 v[40:41], v[116:117], v[40:41], -v[42:43]
	v_fma_f64 v[42:43], v[118:119], v[44:45], v[134:135]
	v_fma_f64 v[44:45], v[120:121], v[44:45], -v[46:47]
	;; [unrolled: 2-line block ×7, first 2 shown]
	ds_read_b128 v[8:11], v146 offset:9600
	ds_read_b128 v[12:15], v146 offset:12800
	s_waitcnt lgkmcnt(4)
	v_add_f64 v[56:57], v[126:127], -v[64:65]
	v_add_f64 v[64:65], v[128:129], -v[66:67]
	s_waitcnt lgkmcnt(0)
	v_add_f64 v[66:67], v[0:1], -v[82:83]
	v_add_f64 v[82:83], v[2:3], -v[16:17]
	;; [unrolled: 1-line block ×8, first 2 shown]
	s_barrier
	v_add_f64 v[32:33], v[24:25], -v[32:33]
	buffer_gl0_inv
	v_add_f64 v[38:39], v[34:35], -v[38:39]
	v_add_f64 v[88:89], v[8:9], -v[30:31]
	;; [unrolled: 1-line block ×9, first 2 shown]
	v_fma_f64 v[68:69], v[126:127], 2.0, -v[56:57]
	v_fma_f64 v[70:71], v[128:129], 2.0, -v[64:65]
	;; [unrolled: 1-line block ×12, first 2 shown]
	v_add_f64 v[0:1], v[56:57], v[26:27]
	v_add_f64 v[2:3], v[64:65], -v[16:17]
	v_fma_f64 v[104:105], v[8:9], 2.0, -v[88:89]
	v_fma_f64 v[58:59], v[22:23], 2.0, -v[30:31]
	;; [unrolled: 1-line block ×8, first 2 shown]
	v_add_f64 v[4:5], v[66:67], v[20:21]
	v_add_f64 v[6:7], v[82:83], -v[28:29]
	v_add_f64 v[8:9], v[84:85], v[32:33]
	v_add_f64 v[10:11], v[86:87], -v[30:31]
	;; [unrolled: 2-line block ×4, first 2 shown]
	v_add_f64 v[20:21], v[68:69], -v[44:45]
	v_add_f64 v[22:23], v[70:71], -v[46:47]
	;; [unrolled: 1-line block ×5, first 2 shown]
	v_fma_f64 v[40:41], v[56:57], 2.0, -v[0:1]
	v_add_f64 v[32:33], v[104:105], -v[34:35]
	v_add_f64 v[28:29], v[100:101], -v[58:59]
	v_fma_f64 v[42:43], v[64:65], 2.0, -v[2:3]
	v_add_f64 v[34:35], v[106:107], -v[36:37]
	v_add_f64 v[36:37], v[108:109], -v[50:51]
	v_add_f64 v[38:39], v[110:111], -v[52:53]
	v_fma_f64 v[44:45], v[66:67], 2.0, -v[4:5]
	v_fma_f64 v[46:47], v[82:83], 2.0, -v[6:7]
	;; [unrolled: 1-line block ×18, first 2 shown]
	ds_write_b128 v146, v[0:3] offset:48000
	ds_write_b128 v146, v[4:7] offset:51200
	;; [unrolled: 1-line block ×15, first 2 shown]
	ds_write_b128 v146, v[60:63]
	ds_write_b128 v146, v[64:67] offset:3200
	ds_write_b128 v146, v[68:71] offset:6400
	;; [unrolled: 1-line block ×4, first 2 shown]
	s_waitcnt lgkmcnt(0)
	s_barrier
	buffer_gl0_inv
	s_and_saveexec_b32 s0, vcc_lo
	s_cbranch_execz .LBB0_19
; %bb.18:
	v_lshl_add_u32 v30, v76, 4, 0
	v_mov_b32_e32 v77, v81
	v_add_nc_u32_e32 v80, 0xc8, v76
	v_add_co_u32 v31, vcc_lo, s2, v78
	ds_read_b128 v[0:3], v30
	ds_read_b128 v[4:7], v30 offset:3200
	ds_read_b128 v[8:11], v30 offset:6400
	v_lshlrev_b64 v[12:13], 4, v[76:77]
	v_add_co_ci_u32_e32 v32, vcc_lo, s3, v79, vcc_lo
	v_lshlrev_b64 v[14:15], 4, v[80:81]
	v_add_nc_u32_e32 v80, 0x190, v76
	v_add_co_u32 v16, vcc_lo, v31, v12
	v_add_co_ci_u32_e32 v17, vcc_lo, v32, v13, vcc_lo
	v_lshlrev_b64 v[12:13], 4, v[80:81]
	v_add_nc_u32_e32 v80, 0x258, v76
	v_add_co_u32 v18, vcc_lo, v31, v14
	v_add_co_ci_u32_e32 v19, vcc_lo, v32, v15, vcc_lo
	v_add_co_u32 v20, vcc_lo, v31, v12
	v_lshlrev_b64 v[22:23], 4, v[80:81]
	v_add_nc_u32_e32 v80, 0x320, v76
	v_add_co_ci_u32_e32 v21, vcc_lo, v32, v13, vcc_lo
	ds_read_b128 v[12:15], v30 offset:60800
	s_waitcnt lgkmcnt(3)
	global_store_dwordx4 v[16:17], v[0:3], off
	s_waitcnt lgkmcnt(2)
	global_store_dwordx4 v[18:19], v[4:7], off
	;; [unrolled: 2-line block ×3, first 2 shown]
	v_lshlrev_b64 v[20:21], 4, v[80:81]
	v_add_nc_u32_e32 v80, 0x3e8, v76
	ds_read_b128 v[0:3], v30 offset:9600
	ds_read_b128 v[4:7], v30 offset:12800
	ds_read_b128 v[8:11], v30 offset:16000
	ds_read_b128 v[16:19], v30 offset:19200
	v_add_co_u32 v22, vcc_lo, v31, v22
	v_lshlrev_b64 v[24:25], 4, v[80:81]
	v_add_nc_u32_e32 v80, 0x4b0, v76
	v_add_co_ci_u32_e32 v23, vcc_lo, v32, v23, vcc_lo
	v_add_co_u32 v20, vcc_lo, v31, v20
	v_lshlrev_b64 v[26:27], 4, v[80:81]
	v_add_nc_u32_e32 v80, 0x578, v76
	v_add_co_ci_u32_e32 v21, vcc_lo, v32, v21, vcc_lo
	v_add_co_u32 v24, vcc_lo, v31, v24
	v_add_co_ci_u32_e32 v25, vcc_lo, v32, v25, vcc_lo
	v_add_co_u32 v26, vcc_lo, v31, v26
	v_lshlrev_b64 v[28:29], 4, v[80:81]
	v_add_nc_u32_e32 v80, 0x640, v76
	v_add_co_ci_u32_e32 v27, vcc_lo, v32, v27, vcc_lo
	s_waitcnt lgkmcnt(3)
	global_store_dwordx4 v[22:23], v[0:3], off
	s_waitcnt lgkmcnt(2)
	global_store_dwordx4 v[20:21], v[4:7], off
	;; [unrolled: 2-line block ×4, first 2 shown]
	ds_read_b128 v[0:3], v30 offset:22400
	ds_read_b128 v[4:7], v30 offset:25600
	v_lshlrev_b64 v[20:21], 4, v[80:81]
	v_add_nc_u32_e32 v80, 0x708, v76
	ds_read_b128 v[8:11], v30 offset:28800
	ds_read_b128 v[16:19], v30 offset:32000
	v_add_co_u32 v22, vcc_lo, v31, v28
	v_add_co_ci_u32_e32 v23, vcc_lo, v32, v29, vcc_lo
	v_lshlrev_b64 v[24:25], 4, v[80:81]
	v_add_nc_u32_e32 v80, 0x7d0, v76
	v_add_co_u32 v20, vcc_lo, v31, v20
	v_add_co_ci_u32_e32 v21, vcc_lo, v32, v21, vcc_lo
	v_lshlrev_b64 v[26:27], 4, v[80:81]
	v_add_nc_u32_e32 v80, 0x898, v76
	v_add_co_u32 v24, vcc_lo, v31, v24
	v_add_co_ci_u32_e32 v25, vcc_lo, v32, v25, vcc_lo
	v_add_co_u32 v26, vcc_lo, v31, v26
	v_lshlrev_b64 v[28:29], 4, v[80:81]
	v_add_nc_u32_e32 v80, 0x960, v76
	v_add_co_ci_u32_e32 v27, vcc_lo, v32, v27, vcc_lo
	s_waitcnt lgkmcnt(3)
	global_store_dwordx4 v[22:23], v[0:3], off
	s_waitcnt lgkmcnt(2)
	global_store_dwordx4 v[20:21], v[4:7], off
	;; [unrolled: 2-line block ×4, first 2 shown]
	ds_read_b128 v[0:3], v30 offset:35200
	ds_read_b128 v[4:7], v30 offset:38400
	v_lshlrev_b64 v[20:21], 4, v[80:81]
	v_add_nc_u32_e32 v80, 0xa28, v76
	ds_read_b128 v[8:11], v30 offset:41600
	ds_read_b128 v[16:19], v30 offset:44800
	v_add_co_u32 v22, vcc_lo, v31, v28
	v_add_co_ci_u32_e32 v23, vcc_lo, v32, v29, vcc_lo
	v_lshlrev_b64 v[24:25], 4, v[80:81]
	v_add_nc_u32_e32 v80, 0xaf0, v76
	v_add_co_u32 v20, vcc_lo, v31, v20
	v_add_co_ci_u32_e32 v21, vcc_lo, v32, v21, vcc_lo
	v_lshlrev_b64 v[26:27], 4, v[80:81]
	v_add_nc_u32_e32 v80, 0xbb8, v76
	;; [unrolled: 4-line block ×3, first 2 shown]
	v_add_co_u32 v26, vcc_lo, v31, v26
	v_add_co_ci_u32_e32 v27, vcc_lo, v32, v27, vcc_lo
	s_waitcnt lgkmcnt(3)
	global_store_dwordx4 v[22:23], v[0:3], off
	s_waitcnt lgkmcnt(2)
	global_store_dwordx4 v[20:21], v[4:7], off
	;; [unrolled: 2-line block ×4, first 2 shown]
	v_lshlrev_b64 v[20:21], 4, v[80:81]
	v_add_nc_u32_e32 v80, 0xd48, v76
	ds_read_b128 v[0:3], v30 offset:48000
	ds_read_b128 v[4:7], v30 offset:51200
	;; [unrolled: 1-line block ×4, first 2 shown]
	v_add_co_u32 v22, vcc_lo, v31, v28
	v_lshlrev_b64 v[24:25], 4, v[80:81]
	v_add_nc_u32_e32 v80, 0xe10, v76
	v_add_co_ci_u32_e32 v23, vcc_lo, v32, v29, vcc_lo
	v_add_co_u32 v20, vcc_lo, v31, v20
	v_lshlrev_b64 v[26:27], 4, v[80:81]
	v_add_nc_u32_e32 v80, 0xed8, v76
	v_add_co_ci_u32_e32 v21, vcc_lo, v32, v21, vcc_lo
	v_add_co_u32 v24, vcc_lo, v31, v24
	v_lshlrev_b64 v[28:29], 4, v[80:81]
	v_add_co_ci_u32_e32 v25, vcc_lo, v32, v25, vcc_lo
	v_add_co_u32 v26, vcc_lo, v31, v26
	v_add_co_ci_u32_e32 v27, vcc_lo, v32, v27, vcc_lo
	v_add_co_u32 v28, vcc_lo, v31, v28
	v_add_co_ci_u32_e32 v29, vcc_lo, v32, v29, vcc_lo
	s_waitcnt lgkmcnt(3)
	global_store_dwordx4 v[22:23], v[0:3], off
	s_waitcnt lgkmcnt(2)
	global_store_dwordx4 v[20:21], v[4:7], off
	;; [unrolled: 2-line block ×4, first 2 shown]
	global_store_dwordx4 v[28:29], v[12:15], off
.LBB0_19:
	s_endpgm
	.section	.rodata,"a",@progbits
	.p2align	6, 0x0
	.amdhsa_kernel fft_rtc_back_len4000_factors_10_10_10_4_wgs_200_tpt_200_halfLds_dp_ip_CI_unitstride_sbrr_C2R_dirReg
		.amdhsa_group_segment_fixed_size 0
		.amdhsa_private_segment_fixed_size 0
		.amdhsa_kernarg_size 88
		.amdhsa_user_sgpr_count 6
		.amdhsa_user_sgpr_private_segment_buffer 1
		.amdhsa_user_sgpr_dispatch_ptr 0
		.amdhsa_user_sgpr_queue_ptr 0
		.amdhsa_user_sgpr_kernarg_segment_ptr 1
		.amdhsa_user_sgpr_dispatch_id 0
		.amdhsa_user_sgpr_flat_scratch_init 0
		.amdhsa_user_sgpr_private_segment_size 0
		.amdhsa_wavefront_size32 1
		.amdhsa_uses_dynamic_stack 0
		.amdhsa_system_sgpr_private_segment_wavefront_offset 0
		.amdhsa_system_sgpr_workgroup_id_x 1
		.amdhsa_system_sgpr_workgroup_id_y 0
		.amdhsa_system_sgpr_workgroup_id_z 0
		.amdhsa_system_sgpr_workgroup_info 0
		.amdhsa_system_vgpr_workitem_id 0
		.amdhsa_next_free_vgpr 171
		.amdhsa_next_free_sgpr 22
		.amdhsa_reserve_vcc 1
		.amdhsa_reserve_flat_scratch 0
		.amdhsa_float_round_mode_32 0
		.amdhsa_float_round_mode_16_64 0
		.amdhsa_float_denorm_mode_32 3
		.amdhsa_float_denorm_mode_16_64 3
		.amdhsa_dx10_clamp 1
		.amdhsa_ieee_mode 1
		.amdhsa_fp16_overflow 0
		.amdhsa_workgroup_processor_mode 1
		.amdhsa_memory_ordered 1
		.amdhsa_forward_progress 0
		.amdhsa_shared_vgpr_count 0
		.amdhsa_exception_fp_ieee_invalid_op 0
		.amdhsa_exception_fp_denorm_src 0
		.amdhsa_exception_fp_ieee_div_zero 0
		.amdhsa_exception_fp_ieee_overflow 0
		.amdhsa_exception_fp_ieee_underflow 0
		.amdhsa_exception_fp_ieee_inexact 0
		.amdhsa_exception_int_div_zero 0
	.end_amdhsa_kernel
	.text
.Lfunc_end0:
	.size	fft_rtc_back_len4000_factors_10_10_10_4_wgs_200_tpt_200_halfLds_dp_ip_CI_unitstride_sbrr_C2R_dirReg, .Lfunc_end0-fft_rtc_back_len4000_factors_10_10_10_4_wgs_200_tpt_200_halfLds_dp_ip_CI_unitstride_sbrr_C2R_dirReg
                                        ; -- End function
	.section	.AMDGPU.csdata,"",@progbits
; Kernel info:
; codeLenInByte = 17160
; NumSgprs: 24
; NumVgprs: 171
; ScratchSize: 0
; MemoryBound: 0
; FloatMode: 240
; IeeeMode: 1
; LDSByteSize: 0 bytes/workgroup (compile time only)
; SGPRBlocks: 2
; VGPRBlocks: 21
; NumSGPRsForWavesPerEU: 24
; NumVGPRsForWavesPerEU: 171
; Occupancy: 5
; WaveLimiterHint : 1
; COMPUTE_PGM_RSRC2:SCRATCH_EN: 0
; COMPUTE_PGM_RSRC2:USER_SGPR: 6
; COMPUTE_PGM_RSRC2:TRAP_HANDLER: 0
; COMPUTE_PGM_RSRC2:TGID_X_EN: 1
; COMPUTE_PGM_RSRC2:TGID_Y_EN: 0
; COMPUTE_PGM_RSRC2:TGID_Z_EN: 0
; COMPUTE_PGM_RSRC2:TIDIG_COMP_CNT: 0
	.text
	.p2alignl 6, 3214868480
	.fill 48, 4, 3214868480
	.type	__hip_cuid_dfba1ce7d2bd1db7,@object ; @__hip_cuid_dfba1ce7d2bd1db7
	.section	.bss,"aw",@nobits
	.globl	__hip_cuid_dfba1ce7d2bd1db7
__hip_cuid_dfba1ce7d2bd1db7:
	.byte	0                               ; 0x0
	.size	__hip_cuid_dfba1ce7d2bd1db7, 1

	.ident	"AMD clang version 19.0.0git (https://github.com/RadeonOpenCompute/llvm-project roc-6.4.0 25133 c7fe45cf4b819c5991fe208aaa96edf142730f1d)"
	.section	".note.GNU-stack","",@progbits
	.addrsig
	.addrsig_sym __hip_cuid_dfba1ce7d2bd1db7
	.amdgpu_metadata
---
amdhsa.kernels:
  - .args:
      - .actual_access:  read_only
        .address_space:  global
        .offset:         0
        .size:           8
        .value_kind:     global_buffer
      - .offset:         8
        .size:           8
        .value_kind:     by_value
      - .actual_access:  read_only
        .address_space:  global
        .offset:         16
        .size:           8
        .value_kind:     global_buffer
      - .actual_access:  read_only
        .address_space:  global
        .offset:         24
        .size:           8
        .value_kind:     global_buffer
      - .offset:         32
        .size:           8
        .value_kind:     by_value
      - .actual_access:  read_only
        .address_space:  global
        .offset:         40
        .size:           8
        .value_kind:     global_buffer
      - .actual_access:  read_only
        .address_space:  global
        .offset:         48
        .size:           8
        .value_kind:     global_buffer
      - .offset:         56
        .size:           4
        .value_kind:     by_value
      - .actual_access:  read_only
        .address_space:  global
        .offset:         64
        .size:           8
        .value_kind:     global_buffer
      - .actual_access:  read_only
        .address_space:  global
        .offset:         72
        .size:           8
        .value_kind:     global_buffer
      - .address_space:  global
        .offset:         80
        .size:           8
        .value_kind:     global_buffer
    .group_segment_fixed_size: 0
    .kernarg_segment_align: 8
    .kernarg_segment_size: 88
    .language:       OpenCL C
    .language_version:
      - 2
      - 0
    .max_flat_workgroup_size: 200
    .name:           fft_rtc_back_len4000_factors_10_10_10_4_wgs_200_tpt_200_halfLds_dp_ip_CI_unitstride_sbrr_C2R_dirReg
    .private_segment_fixed_size: 0
    .sgpr_count:     24
    .sgpr_spill_count: 0
    .symbol:         fft_rtc_back_len4000_factors_10_10_10_4_wgs_200_tpt_200_halfLds_dp_ip_CI_unitstride_sbrr_C2R_dirReg.kd
    .uniform_work_group_size: 1
    .uses_dynamic_stack: false
    .vgpr_count:     171
    .vgpr_spill_count: 0
    .wavefront_size: 32
    .workgroup_processor_mode: 1
amdhsa.target:   amdgcn-amd-amdhsa--gfx1030
amdhsa.version:
  - 1
  - 2
...

	.end_amdgpu_metadata
